;; amdgpu-corpus repo=ROCm/rocFFT kind=compiled arch=gfx1201 opt=O3
	.text
	.amdgcn_target "amdgcn-amd-amdhsa--gfx1201"
	.amdhsa_code_object_version 6
	.protected	fft_rtc_back_len850_factors_10_5_17_wgs_85_tpt_85_half_op_CI_CI_unitstride_sbrr_C2R_dirReg ; -- Begin function fft_rtc_back_len850_factors_10_5_17_wgs_85_tpt_85_half_op_CI_CI_unitstride_sbrr_C2R_dirReg
	.globl	fft_rtc_back_len850_factors_10_5_17_wgs_85_tpt_85_half_op_CI_CI_unitstride_sbrr_C2R_dirReg
	.p2align	8
	.type	fft_rtc_back_len850_factors_10_5_17_wgs_85_tpt_85_half_op_CI_CI_unitstride_sbrr_C2R_dirReg,@function
fft_rtc_back_len850_factors_10_5_17_wgs_85_tpt_85_half_op_CI_CI_unitstride_sbrr_C2R_dirReg: ; @fft_rtc_back_len850_factors_10_5_17_wgs_85_tpt_85_half_op_CI_CI_unitstride_sbrr_C2R_dirReg
; %bb.0:
	s_clause 0x2
	s_load_b128 s[8:11], s[0:1], 0x0
	s_load_b128 s[4:7], s[0:1], 0x58
	;; [unrolled: 1-line block ×3, first 2 shown]
	v_mul_u32_u24_e32 v1, 0x304, v0
	v_mov_b32_e32 v3, 0
	v_mov_b32_e32 v7, 0
	;; [unrolled: 1-line block ×3, first 2 shown]
	s_delay_alu instid0(VALU_DEP_4) | instskip(NEXT) | instid1(VALU_DEP_1)
	v_lshrrev_b32_e32 v1, 16, v1
	v_dual_mov_b32 v10, v3 :: v_dual_add_nc_u32 v9, ttmp9, v1
	s_wait_kmcnt 0x0
	v_cmp_lt_u64_e64 s2, s[10:11], 2
	s_delay_alu instid0(VALU_DEP_1)
	s_and_b32 vcc_lo, exec_lo, s2
	s_cbranch_vccnz .LBB0_8
; %bb.1:
	s_load_b64 s[2:3], s[0:1], 0x10
	v_mov_b32_e32 v7, 0
	v_mov_b32_e32 v8, 0
	s_delay_alu instid0(VALU_DEP_2)
	v_mov_b32_e32 v1, v7
	s_add_nc_u64 s[16:17], s[14:15], 8
	s_add_nc_u64 s[18:19], s[12:13], 8
	s_mov_b64 s[20:21], 1
	v_mov_b32_e32 v2, v8
	s_wait_kmcnt 0x0
	s_add_nc_u64 s[22:23], s[2:3], 8
	s_mov_b32 s3, 0
.LBB0_2:                                ; =>This Inner Loop Header: Depth=1
	s_load_b64 s[24:25], s[22:23], 0x0
                                        ; implicit-def: $vgpr5_vgpr6
	s_mov_b32 s2, exec_lo
	s_wait_kmcnt 0x0
	v_or_b32_e32 v4, s25, v10
	s_delay_alu instid0(VALU_DEP_1)
	v_cmpx_ne_u64_e32 0, v[3:4]
	s_wait_alu 0xfffe
	s_xor_b32 s26, exec_lo, s2
	s_cbranch_execz .LBB0_4
; %bb.3:                                ;   in Loop: Header=BB0_2 Depth=1
	s_cvt_f32_u32 s2, s24
	s_cvt_f32_u32 s27, s25
	s_sub_nc_u64 s[30:31], 0, s[24:25]
	s_wait_alu 0xfffe
	s_delay_alu instid0(SALU_CYCLE_1) | instskip(SKIP_1) | instid1(SALU_CYCLE_2)
	s_fmamk_f32 s2, s27, 0x4f800000, s2
	s_wait_alu 0xfffe
	v_s_rcp_f32 s2, s2
	s_delay_alu instid0(TRANS32_DEP_1) | instskip(SKIP_1) | instid1(SALU_CYCLE_2)
	s_mul_f32 s2, s2, 0x5f7ffffc
	s_wait_alu 0xfffe
	s_mul_f32 s27, s2, 0x2f800000
	s_wait_alu 0xfffe
	s_delay_alu instid0(SALU_CYCLE_2) | instskip(SKIP_1) | instid1(SALU_CYCLE_2)
	s_trunc_f32 s27, s27
	s_wait_alu 0xfffe
	s_fmamk_f32 s2, s27, 0xcf800000, s2
	s_cvt_u32_f32 s29, s27
	s_wait_alu 0xfffe
	s_delay_alu instid0(SALU_CYCLE_1) | instskip(SKIP_1) | instid1(SALU_CYCLE_2)
	s_cvt_u32_f32 s28, s2
	s_wait_alu 0xfffe
	s_mul_u64 s[34:35], s[30:31], s[28:29]
	s_wait_alu 0xfffe
	s_mul_hi_u32 s37, s28, s35
	s_mul_i32 s36, s28, s35
	s_mul_hi_u32 s2, s28, s34
	s_mul_i32 s33, s29, s34
	s_wait_alu 0xfffe
	s_add_nc_u64 s[36:37], s[2:3], s[36:37]
	s_mul_hi_u32 s27, s29, s34
	s_mul_hi_u32 s38, s29, s35
	s_add_co_u32 s2, s36, s33
	s_wait_alu 0xfffe
	s_add_co_ci_u32 s2, s37, s27
	s_mul_i32 s34, s29, s35
	s_add_co_ci_u32 s35, s38, 0
	s_wait_alu 0xfffe
	s_add_nc_u64 s[34:35], s[2:3], s[34:35]
	s_wait_alu 0xfffe
	v_add_co_u32 v4, s2, s28, s34
	s_delay_alu instid0(VALU_DEP_1) | instskip(SKIP_1) | instid1(VALU_DEP_1)
	s_cmp_lg_u32 s2, 0
	s_add_co_ci_u32 s29, s29, s35
	v_readfirstlane_b32 s28, v4
	s_wait_alu 0xfffe
	s_delay_alu instid0(VALU_DEP_1)
	s_mul_u64 s[30:31], s[30:31], s[28:29]
	s_wait_alu 0xfffe
	s_mul_hi_u32 s35, s28, s31
	s_mul_i32 s34, s28, s31
	s_mul_hi_u32 s2, s28, s30
	s_mul_i32 s33, s29, s30
	s_wait_alu 0xfffe
	s_add_nc_u64 s[34:35], s[2:3], s[34:35]
	s_mul_hi_u32 s27, s29, s30
	s_mul_hi_u32 s28, s29, s31
	s_wait_alu 0xfffe
	s_add_co_u32 s2, s34, s33
	s_add_co_ci_u32 s2, s35, s27
	s_mul_i32 s30, s29, s31
	s_add_co_ci_u32 s31, s28, 0
	s_wait_alu 0xfffe
	s_add_nc_u64 s[30:31], s[2:3], s[30:31]
	s_wait_alu 0xfffe
	v_add_co_u32 v6, s2, v4, s30
	s_delay_alu instid0(VALU_DEP_1) | instskip(SKIP_1) | instid1(VALU_DEP_1)
	s_cmp_lg_u32 s2, 0
	s_add_co_ci_u32 s2, s29, s31
	v_mul_hi_u32 v15, v9, v6
	s_wait_alu 0xfffe
	v_mad_co_u64_u32 v[4:5], null, v9, s2, 0
	v_mad_co_u64_u32 v[11:12], null, v10, v6, 0
	;; [unrolled: 1-line block ×3, first 2 shown]
	s_delay_alu instid0(VALU_DEP_3) | instskip(SKIP_1) | instid1(VALU_DEP_4)
	v_add_co_u32 v4, vcc_lo, v15, v4
	s_wait_alu 0xfffd
	v_add_co_ci_u32_e32 v5, vcc_lo, 0, v5, vcc_lo
	s_delay_alu instid0(VALU_DEP_2) | instskip(SKIP_1) | instid1(VALU_DEP_2)
	v_add_co_u32 v4, vcc_lo, v4, v11
	s_wait_alu 0xfffd
	v_add_co_ci_u32_e32 v4, vcc_lo, v5, v12, vcc_lo
	s_wait_alu 0xfffd
	v_add_co_ci_u32_e32 v5, vcc_lo, 0, v14, vcc_lo
	s_delay_alu instid0(VALU_DEP_2) | instskip(SKIP_1) | instid1(VALU_DEP_2)
	v_add_co_u32 v11, vcc_lo, v4, v13
	s_wait_alu 0xfffd
	v_add_co_ci_u32_e32 v6, vcc_lo, 0, v5, vcc_lo
	s_delay_alu instid0(VALU_DEP_2) | instskip(SKIP_1) | instid1(VALU_DEP_3)
	v_mul_lo_u32 v12, s25, v11
	v_mad_co_u64_u32 v[4:5], null, s24, v11, 0
	v_mul_lo_u32 v13, s24, v6
	s_delay_alu instid0(VALU_DEP_2) | instskip(NEXT) | instid1(VALU_DEP_2)
	v_sub_co_u32 v4, vcc_lo, v9, v4
	v_add3_u32 v5, v5, v13, v12
	s_delay_alu instid0(VALU_DEP_1) | instskip(SKIP_1) | instid1(VALU_DEP_1)
	v_sub_nc_u32_e32 v12, v10, v5
	s_wait_alu 0xfffd
	v_subrev_co_ci_u32_e64 v12, s2, s25, v12, vcc_lo
	v_add_co_u32 v13, s2, v11, 2
	s_wait_alu 0xf1ff
	v_add_co_ci_u32_e64 v14, s2, 0, v6, s2
	v_sub_co_u32 v15, s2, v4, s24
	v_sub_co_ci_u32_e32 v5, vcc_lo, v10, v5, vcc_lo
	s_wait_alu 0xf1ff
	v_subrev_co_ci_u32_e64 v12, s2, 0, v12, s2
	s_delay_alu instid0(VALU_DEP_3) | instskip(NEXT) | instid1(VALU_DEP_3)
	v_cmp_le_u32_e32 vcc_lo, s24, v15
	v_cmp_eq_u32_e64 s2, s25, v5
	s_wait_alu 0xfffd
	v_cndmask_b32_e64 v15, 0, -1, vcc_lo
	v_cmp_le_u32_e32 vcc_lo, s25, v12
	s_wait_alu 0xfffd
	v_cndmask_b32_e64 v16, 0, -1, vcc_lo
	v_cmp_le_u32_e32 vcc_lo, s24, v4
	;; [unrolled: 3-line block ×3, first 2 shown]
	s_wait_alu 0xfffd
	v_cndmask_b32_e64 v17, 0, -1, vcc_lo
	v_cmp_eq_u32_e32 vcc_lo, s25, v12
	s_wait_alu 0xf1ff
	s_delay_alu instid0(VALU_DEP_2)
	v_cndmask_b32_e64 v4, v17, v4, s2
	s_wait_alu 0xfffd
	v_cndmask_b32_e32 v12, v16, v15, vcc_lo
	v_add_co_u32 v15, vcc_lo, v11, 1
	s_wait_alu 0xfffd
	v_add_co_ci_u32_e32 v16, vcc_lo, 0, v6, vcc_lo
	s_delay_alu instid0(VALU_DEP_3) | instskip(SKIP_1) | instid1(VALU_DEP_2)
	v_cmp_ne_u32_e32 vcc_lo, 0, v12
	s_wait_alu 0xfffd
	v_dual_cndmask_b32 v5, v16, v14 :: v_dual_cndmask_b32 v12, v15, v13
	v_cmp_ne_u32_e32 vcc_lo, 0, v4
	s_wait_alu 0xfffd
	s_delay_alu instid0(VALU_DEP_2)
	v_dual_cndmask_b32 v6, v6, v5 :: v_dual_cndmask_b32 v5, v11, v12
.LBB0_4:                                ;   in Loop: Header=BB0_2 Depth=1
	s_wait_alu 0xfffe
	s_and_not1_saveexec_b32 s2, s26
	s_cbranch_execz .LBB0_6
; %bb.5:                                ;   in Loop: Header=BB0_2 Depth=1
	v_cvt_f32_u32_e32 v4, s24
	s_sub_co_i32 s26, 0, s24
	s_delay_alu instid0(VALU_DEP_1) | instskip(NEXT) | instid1(TRANS32_DEP_1)
	v_rcp_iflag_f32_e32 v4, v4
	v_mul_f32_e32 v4, 0x4f7ffffe, v4
	s_delay_alu instid0(VALU_DEP_1) | instskip(SKIP_1) | instid1(VALU_DEP_1)
	v_cvt_u32_f32_e32 v4, v4
	s_wait_alu 0xfffe
	v_mul_lo_u32 v5, s26, v4
	s_delay_alu instid0(VALU_DEP_1) | instskip(NEXT) | instid1(VALU_DEP_1)
	v_mul_hi_u32 v5, v4, v5
	v_add_nc_u32_e32 v4, v4, v5
	s_delay_alu instid0(VALU_DEP_1) | instskip(NEXT) | instid1(VALU_DEP_1)
	v_mul_hi_u32 v4, v9, v4
	v_mul_lo_u32 v5, v4, s24
	v_add_nc_u32_e32 v6, 1, v4
	s_delay_alu instid0(VALU_DEP_2) | instskip(NEXT) | instid1(VALU_DEP_1)
	v_sub_nc_u32_e32 v5, v9, v5
	v_subrev_nc_u32_e32 v11, s24, v5
	v_cmp_le_u32_e32 vcc_lo, s24, v5
	s_wait_alu 0xfffd
	s_delay_alu instid0(VALU_DEP_2) | instskip(NEXT) | instid1(VALU_DEP_1)
	v_dual_cndmask_b32 v5, v5, v11 :: v_dual_cndmask_b32 v4, v4, v6
	v_cmp_le_u32_e32 vcc_lo, s24, v5
	s_delay_alu instid0(VALU_DEP_2) | instskip(SKIP_1) | instid1(VALU_DEP_1)
	v_add_nc_u32_e32 v6, 1, v4
	s_wait_alu 0xfffd
	v_dual_cndmask_b32 v5, v4, v6 :: v_dual_mov_b32 v6, v3
.LBB0_6:                                ;   in Loop: Header=BB0_2 Depth=1
	s_wait_alu 0xfffe
	s_or_b32 exec_lo, exec_lo, s2
	s_delay_alu instid0(VALU_DEP_1) | instskip(NEXT) | instid1(VALU_DEP_2)
	v_mul_lo_u32 v4, v6, s24
	v_mul_lo_u32 v13, v5, s25
	s_load_b64 s[26:27], s[18:19], 0x0
	v_mad_co_u64_u32 v[11:12], null, v5, s24, 0
	s_load_b64 s[24:25], s[16:17], 0x0
	s_add_nc_u64 s[20:21], s[20:21], 1
	s_add_nc_u64 s[16:17], s[16:17], 8
	s_wait_alu 0xfffe
	v_cmp_ge_u64_e64 s2, s[20:21], s[10:11]
	s_add_nc_u64 s[18:19], s[18:19], 8
	s_add_nc_u64 s[22:23], s[22:23], 8
	v_add3_u32 v4, v12, v13, v4
	v_sub_co_u32 v9, vcc_lo, v9, v11
	s_wait_alu 0xfffd
	s_delay_alu instid0(VALU_DEP_2) | instskip(SKIP_2) | instid1(VALU_DEP_1)
	v_sub_co_ci_u32_e32 v4, vcc_lo, v10, v4, vcc_lo
	s_and_b32 vcc_lo, exec_lo, s2
	s_wait_kmcnt 0x0
	v_mul_lo_u32 v10, s26, v4
	v_mul_lo_u32 v11, s27, v9
	v_mad_co_u64_u32 v[7:8], null, s26, v9, v[7:8]
	v_mul_lo_u32 v4, s24, v4
	v_mul_lo_u32 v12, s25, v9
	v_mad_co_u64_u32 v[1:2], null, s24, v9, v[1:2]
	s_delay_alu instid0(VALU_DEP_4) | instskip(NEXT) | instid1(VALU_DEP_2)
	v_add3_u32 v8, v11, v8, v10
	v_add3_u32 v2, v12, v2, v4
	s_wait_alu 0xfffe
	s_cbranch_vccnz .LBB0_9
; %bb.7:                                ;   in Loop: Header=BB0_2 Depth=1
	v_dual_mov_b32 v10, v6 :: v_dual_mov_b32 v9, v5
	s_branch .LBB0_2
.LBB0_8:
	v_dual_mov_b32 v1, v7 :: v_dual_mov_b32 v2, v8
	v_dual_mov_b32 v5, v9 :: v_dual_mov_b32 v6, v10
.LBB0_9:
	s_load_b64 s[0:1], s[0:1], 0x28
	v_mul_hi_u32 v4, 0x3030304, v0
	s_lshl_b64 s[10:11], s[10:11], 3
                                        ; implicit-def: $vgpr3
	s_wait_alu 0xfffe
	s_add_nc_u64 s[2:3], s[14:15], s[10:11]
	s_wait_kmcnt 0x0
	v_cmp_gt_u64_e32 vcc_lo, s[0:1], v[5:6]
	v_cmp_le_u64_e64 s0, s[0:1], v[5:6]
	s_delay_alu instid0(VALU_DEP_1)
	s_and_saveexec_b32 s1, s0
	s_wait_alu 0xfffe
	s_xor_b32 s0, exec_lo, s1
; %bb.10:
	v_mul_u32_u24_e32 v3, 0x55, v4
                                        ; implicit-def: $vgpr4
                                        ; implicit-def: $vgpr7_vgpr8
	s_delay_alu instid0(VALU_DEP_1)
	v_sub_nc_u32_e32 v3, v0, v3
                                        ; implicit-def: $vgpr0
; %bb.11:
	s_wait_alu 0xfffe
	s_or_saveexec_b32 s1, s0
	s_load_b64 s[2:3], s[2:3], 0x0
	s_xor_b32 exec_lo, exec_lo, s1
	s_cbranch_execz .LBB0_15
; %bb.12:
	s_add_nc_u64 s[10:11], s[12:13], s[10:11]
	v_lshlrev_b64_e32 v[7:8], 2, v[7:8]
	s_load_b64 s[10:11], s[10:11], 0x0
	s_wait_kmcnt 0x0
	v_mul_lo_u32 v3, s11, v5
	v_mul_lo_u32 v11, s10, v6
	v_mad_co_u64_u32 v[9:10], null, s10, v5, 0
	s_delay_alu instid0(VALU_DEP_1) | instskip(SKIP_1) | instid1(VALU_DEP_2)
	v_add3_u32 v10, v10, v11, v3
	v_mul_u32_u24_e32 v3, 0x55, v4
	v_lshlrev_b64_e32 v[9:10], 2, v[9:10]
	s_delay_alu instid0(VALU_DEP_2) | instskip(NEXT) | instid1(VALU_DEP_1)
	v_sub_nc_u32_e32 v3, v0, v3
	v_lshlrev_b32_e32 v11, 2, v3
	s_delay_alu instid0(VALU_DEP_3) | instskip(SKIP_1) | instid1(VALU_DEP_4)
	v_add_co_u32 v0, s0, s4, v9
	s_wait_alu 0xf1ff
	v_add_co_ci_u32_e64 v4, s0, s5, v10, s0
	s_mov_b32 s4, exec_lo
	s_delay_alu instid0(VALU_DEP_2) | instskip(SKIP_1) | instid1(VALU_DEP_2)
	v_add_co_u32 v7, s0, v0, v7
	s_wait_alu 0xf1ff
	v_add_co_ci_u32_e64 v8, s0, v4, v8, s0
	s_delay_alu instid0(VALU_DEP_2) | instskip(SKIP_1) | instid1(VALU_DEP_2)
	v_add_co_u32 v9, s0, v7, v11
	s_wait_alu 0xf1ff
	v_add_co_ci_u32_e64 v10, s0, 0, v8, s0
	s_clause 0x9
	global_load_b32 v0, v[9:10], off
	global_load_b32 v4, v[9:10], off offset:340
	global_load_b32 v12, v[9:10], off offset:680
	;; [unrolled: 1-line block ×9, first 2 shown]
	v_add_nc_u32_e32 v10, 0, v11
	s_delay_alu instid0(VALU_DEP_1)
	v_add_nc_u32_e32 v11, 0x400, v10
	v_add_nc_u32_e32 v19, 0x600, v10
	;; [unrolled: 1-line block ×3, first 2 shown]
	s_wait_loadcnt 0x8
	ds_store_2addr_b32 v10, v0, v4 offset1:85
	s_wait_loadcnt 0x6
	ds_store_2addr_b32 v10, v12, v13 offset0:170 offset1:255
	s_wait_loadcnt 0x4
	ds_store_2addr_b32 v11, v14, v15 offset0:84 offset1:169
	;; [unrolled: 2-line block ×4, first 2 shown]
	v_cmpx_eq_u32_e32 0x54, v3
	s_cbranch_execz .LBB0_14
; %bb.13:
	global_load_b32 v0, v[7:8], off offset:3400
	v_dual_mov_b32 v4, 0 :: v_dual_mov_b32 v3, 0x54
	s_wait_loadcnt 0x0
	ds_store_b32 v4, v0 offset:3400
.LBB0_14:
	s_wait_alu 0xfffe
	s_or_b32 exec_lo, exec_lo, s4
.LBB0_15:
	s_delay_alu instid0(SALU_CYCLE_1)
	s_or_b32 exec_lo, exec_lo, s1
	v_lshlrev_b32_e32 v4, 2, v3
	global_wb scope:SCOPE_SE
	s_wait_dscnt 0x0
	s_wait_kmcnt 0x0
	s_barrier_signal -1
	s_barrier_wait -1
	global_inv scope:SCOPE_SE
	v_add_nc_u32_e32 v0, 0, v4
	v_sub_nc_u32_e32 v9, 0, v4
	s_mov_b32 s1, exec_lo
                                        ; implicit-def: $vgpr7_vgpr8
	ds_load_u16 v12, v0
	ds_load_u16 v13, v9 offset:3400
	s_wait_dscnt 0x0
	v_add_f16_e32 v11, v13, v12
	v_sub_f16_e32 v10, v12, v13
	v_cmpx_ne_u32_e32 0, v3
	s_wait_alu 0xfffe
	s_xor_b32 s1, exec_lo, s1
	s_cbranch_execz .LBB0_17
; %bb.16:
	v_mov_b32_e32 v4, 0
	v_add_f16_e32 v11, v13, v12
	v_sub_f16_e32 v12, v12, v13
	s_delay_alu instid0(VALU_DEP_3) | instskip(NEXT) | instid1(VALU_DEP_1)
	v_lshlrev_b64_e32 v[7:8], 2, v[3:4]
	v_add_co_u32 v7, s0, s8, v7
	s_wait_alu 0xf1ff
	s_delay_alu instid0(VALU_DEP_2)
	v_add_co_ci_u32_e64 v8, s0, s9, v8, s0
	global_load_b32 v7, v[7:8], off offset:3360
	ds_load_u16 v8, v9 offset:3402
	ds_load_u16 v10, v0 offset:2
	s_wait_dscnt 0x0
	v_add_f16_e32 v13, v8, v10
	v_sub_f16_e32 v8, v10, v8
	s_wait_loadcnt 0x0
	v_lshrrev_b32_e32 v14, 16, v7
	s_delay_alu instid0(VALU_DEP_1) | instskip(NEXT) | instid1(VALU_DEP_3)
	v_fma_f16 v15, -v12, v14, v11
	v_fma_f16 v16, v13, v14, -v8
	v_fma_f16 v10, v13, v14, v8
	v_fma_f16 v11, v12, v14, v11
	s_delay_alu instid0(VALU_DEP_4) | instskip(NEXT) | instid1(VALU_DEP_4)
	v_fmac_f16_e32 v15, v7, v13
	v_fmac_f16_e32 v16, v12, v7
	s_delay_alu instid0(VALU_DEP_4) | instskip(NEXT) | instid1(VALU_DEP_4)
	v_fmac_f16_e32 v10, v12, v7
	v_fma_f16 v11, -v7, v13, v11
	v_dual_mov_b32 v8, v4 :: v_dual_mov_b32 v7, v3
	s_delay_alu instid0(VALU_DEP_4)
	v_pack_b32_f16 v12, v15, v16
	ds_store_b32 v9, v12 offset:3400
.LBB0_17:
	s_wait_alu 0xfffe
	s_and_not1_saveexec_b32 s0, s1
	s_cbranch_execz .LBB0_19
; %bb.18:
	v_mov_b32_e32 v4, 0
	ds_load_b32 v7, v4 offset:1700
	s_wait_dscnt 0x0
	v_pk_mul_f16 v12, 0xc0004000, v7
	v_mov_b32_e32 v7, 0
	v_mov_b32_e32 v8, 0
	ds_store_b32 v4, v12 offset:1700
.LBB0_19:
	s_wait_alu 0xfffe
	s_or_b32 exec_lo, exec_lo, s0
	v_lshlrev_b64_e32 v[7:8], 2, v[7:8]
	s_add_nc_u64 s[0:1], s[8:9], 0xd20
	v_add_nc_u32_e32 v23, 0x400, v0
	v_add_nc_u32_e32 v21, 0x800, v0
	s_wait_alu 0xfffe
	s_delay_alu instid0(VALU_DEP_3)
	v_add_co_u32 v7, s0, s0, v7
	s_wait_alu 0xf1ff
	v_add_co_ci_u32_e64 v8, s0, s1, v8, s0
	v_cmp_gt_u32_e64 s0, 50, v3
	s_clause 0x3
	global_load_b32 v4, v[7:8], off offset:340
	global_load_b32 v12, v[7:8], off offset:680
	;; [unrolled: 1-line block ×4, first 2 shown]
	v_perm_b32 v8, v10, v11, 0x5040100
	ds_store_b32 v0, v8
	ds_load_b32 v8, v0 offset:340
	ds_load_b32 v10, v9 offset:3060
	s_wait_dscnt 0x1
	v_lshrrev_b32_e32 v11, 16, v8
	s_wait_dscnt 0x0
	v_lshrrev_b32_e32 v14, 16, v10
	v_add_f16_e32 v15, v8, v10
	v_sub_f16_e32 v8, v8, v10
	s_delay_alu instid0(VALU_DEP_3) | instskip(SKIP_3) | instid1(VALU_DEP_1)
	v_add_f16_e32 v10, v14, v11
	v_sub_f16_e32 v11, v11, v14
	s_wait_loadcnt 0x3
	v_lshrrev_b32_e32 v16, 16, v4
	v_fma_f16 v14, v8, v16, v15
	s_delay_alu instid0(VALU_DEP_3) | instskip(SKIP_2) | instid1(VALU_DEP_4)
	v_fma_f16 v17, v10, v16, v11
	v_fma_f16 v15, -v8, v16, v15
	v_fma_f16 v11, v10, v16, -v11
	v_fma_f16 v14, -v4, v10, v14
	s_delay_alu instid0(VALU_DEP_4) | instskip(NEXT) | instid1(VALU_DEP_4)
	v_fmac_f16_e32 v17, v8, v4
	v_fmac_f16_e32 v15, v4, v10
	s_delay_alu instid0(VALU_DEP_4) | instskip(NEXT) | instid1(VALU_DEP_3)
	v_fmac_f16_e32 v11, v8, v4
	v_pack_b32_f16 v4, v14, v17
	s_wait_loadcnt 0x2
	v_lshrrev_b32_e32 v14, 16, v12
	s_delay_alu instid0(VALU_DEP_3)
	v_pack_b32_f16 v8, v15, v11
	v_add_nc_u32_e32 v17, 0x600, v0
	ds_store_b32 v0, v4 offset:340
	ds_store_b32 v9, v8 offset:3060
	ds_load_b32 v4, v0 offset:680
	ds_load_b32 v8, v9 offset:2720
	s_wait_dscnt 0x1
	v_lshrrev_b32_e32 v10, 16, v4
	s_wait_dscnt 0x0
	v_lshrrev_b32_e32 v11, 16, v8
	v_add_f16_e32 v15, v4, v8
	v_sub_f16_e32 v4, v4, v8
	s_delay_alu instid0(VALU_DEP_3) | instskip(SKIP_1) | instid1(VALU_DEP_3)
	v_add_f16_e32 v8, v11, v10
	v_sub_f16_e32 v10, v10, v11
	v_fma_f16 v11, v4, v14, v15
	v_fma_f16 v15, -v4, v14, v15
	s_delay_alu instid0(VALU_DEP_3) | instskip(SKIP_1) | instid1(VALU_DEP_4)
	v_fma_f16 v16, v8, v14, v10
	v_fma_f16 v10, v8, v14, -v10
	v_fma_f16 v11, -v12, v8, v11
	s_delay_alu instid0(VALU_DEP_4) | instskip(NEXT) | instid1(VALU_DEP_4)
	v_fmac_f16_e32 v15, v12, v8
	v_fmac_f16_e32 v16, v4, v12
	s_delay_alu instid0(VALU_DEP_4) | instskip(SKIP_2) | instid1(VALU_DEP_3)
	v_fmac_f16_e32 v10, v4, v12
	s_wait_loadcnt 0x1
	v_lshrrev_b32_e32 v12, 16, v13
	v_pack_b32_f16 v4, v11, v16
	s_delay_alu instid0(VALU_DEP_3)
	v_pack_b32_f16 v8, v15, v10
	ds_store_b32 v0, v4 offset:680
	ds_store_b32 v9, v8 offset:2720
	ds_load_b32 v4, v0 offset:1020
	ds_load_b32 v8, v9 offset:2380
	s_wait_dscnt 0x1
	v_lshrrev_b32_e32 v10, 16, v4
	s_wait_dscnt 0x0
	v_lshrrev_b32_e32 v11, 16, v8
	v_add_f16_e32 v14, v4, v8
	v_sub_f16_e32 v4, v4, v8
	s_delay_alu instid0(VALU_DEP_3) | instskip(SKIP_1) | instid1(VALU_DEP_3)
	v_add_f16_e32 v8, v11, v10
	v_sub_f16_e32 v10, v10, v11
	v_fma_f16 v11, v4, v12, v14
	v_fma_f16 v14, -v4, v12, v14
	s_delay_alu instid0(VALU_DEP_3) | instskip(SKIP_1) | instid1(VALU_DEP_4)
	v_fma_f16 v15, v8, v12, v10
	v_fma_f16 v10, v8, v12, -v10
	v_fma_f16 v11, -v13, v8, v11
	s_delay_alu instid0(VALU_DEP_4) | instskip(NEXT) | instid1(VALU_DEP_4)
	v_fmac_f16_e32 v14, v13, v8
	v_fmac_f16_e32 v15, v4, v13
	s_delay_alu instid0(VALU_DEP_4) | instskip(SKIP_2) | instid1(VALU_DEP_3)
	v_fmac_f16_e32 v10, v4, v13
	s_wait_loadcnt 0x0
	v_lshrrev_b32_e32 v13, 16, v7
	v_pack_b32_f16 v4, v11, v15
	s_delay_alu instid0(VALU_DEP_3)
	v_pack_b32_f16 v8, v14, v10
	ds_store_b32 v0, v4 offset:1020
	ds_store_b32 v9, v8 offset:2380
	ds_load_b32 v4, v0 offset:1360
	ds_load_b32 v8, v9 offset:2040
	v_add_nc_u16 v15, v3, 0x55
	v_and_b32_e32 v10, 0xff, v3
	s_delay_alu instid0(VALU_DEP_1)
	v_mul_lo_u16 v10, 0xcd, v10
	s_wait_dscnt 0x1
	v_lshrrev_b32_e32 v11, 16, v4
	s_wait_dscnt 0x0
	v_lshrrev_b32_e32 v12, 16, v8
	v_add_f16_e32 v14, v4, v8
	v_sub_f16_e32 v4, v4, v8
	s_delay_alu instid0(VALU_DEP_3) | instskip(SKIP_2) | instid1(VALU_DEP_4)
	v_add_f16_e32 v8, v12, v11
	v_sub_f16_e32 v11, v11, v12
	v_and_b32_e32 v12, 0xff, v15
	v_fma_f16 v16, v4, v13, v14
	v_fma_f16 v14, -v4, v13, v14
	s_delay_alu instid0(VALU_DEP_4)
	v_fma_f16 v18, v8, v13, v11
	v_fma_f16 v11, v8, v13, -v11
	v_mul_lo_u16 v12, 0xcd, v12
	v_fma_f16 v13, -v7, v8, v16
	v_fmac_f16_e32 v14, v7, v8
	v_fmac_f16_e32 v18, v4, v7
	;; [unrolled: 1-line block ×3, first 2 shown]
	v_lshrrev_b16 v4, 11, v10
	v_lshrrev_b16 v19, 11, v12
	s_delay_alu instid0(VALU_DEP_4) | instskip(NEXT) | instid1(VALU_DEP_4)
	v_pack_b32_f16 v7, v13, v18
	v_pack_b32_f16 v8, v14, v11
	s_delay_alu instid0(VALU_DEP_4) | instskip(NEXT) | instid1(VALU_DEP_4)
	v_mul_lo_u16 v16, v4, 10
	v_mul_lo_u16 v18, v19, 10
	ds_store_b32 v0, v7 offset:1360
	ds_store_b32 v9, v8 offset:2040
	global_wb scope:SCOPE_SE
	s_wait_dscnt 0x0
	v_sub_nc_u16 v16, v3, v16
	v_sub_nc_u16 v15, v15, v18
	s_barrier_signal -1
	s_barrier_wait -1
	global_inv scope:SCOPE_SE
	global_wb scope:SCOPE_SE
	s_barrier_signal -1
	s_barrier_wait -1
	global_inv scope:SCOPE_SE
	ds_load_2addr_b32 v[7:8], v23 offset0:84 offset1:169
	ds_load_2addr_b32 v[9:10], v17 offset0:126 offset1:211
	;; [unrolled: 1-line block ×4, first 2 shown]
	v_and_b32_e32 v20, 0xff, v16
	v_and_b32_e32 v22, 0xff, v15
	ds_load_2addr_b32 v[15:16], v0 offset1:85
	v_mad_u32_u24 v18, v3, 36, v0
	global_wb scope:SCOPE_SE
	s_wait_dscnt 0x0
	v_lshlrev_b32_e32 v24, 4, v20
	v_lshlrev_b32_e32 v25, 4, v22
	s_barrier_signal -1
	s_barrier_wait -1
	global_inv scope:SCOPE_SE
	v_and_b32_e32 v4, 0xffff, v4
	s_delay_alu instid0(VALU_DEP_1)
	v_mul_u32_u24_e32 v4, 0xc8, v4
	v_lshrrev_b32_e32 v29, 16, v7
	v_add_f16_e32 v26, v7, v9
	v_lshrrev_b32_e32 v27, 16, v11
	v_lshrrev_b32_e32 v28, 16, v13
	;; [unrolled: 1-line block ×3, first 2 shown]
	v_sub_f16_e32 v31, v13, v9
	v_sub_f16_e32 v32, v11, v7
	v_add_f16_e32 v33, v11, v13
	v_sub_f16_e32 v34, v9, v13
	v_sub_f16_e32 v35, v7, v11
	v_pk_add_f16 v36, v15, v11
	v_add_f16_e32 v39, v8, v10
	v_lshrrev_b32_e32 v42, 16, v8
	v_lshrrev_b32_e32 v43, 16, v10
	v_add_f16_e32 v46, v12, v14
	v_pk_add_f16 v49, v16, v12
	v_lshrrev_b32_e32 v40, 16, v12
	v_lshrrev_b32_e32 v41, 16, v14
	;; [unrolled: 1-line block ×3, first 2 shown]
	v_sub_f16_e32 v38, v7, v9
	v_sub_f16_e32 v45, v12, v8
	;; [unrolled: 1-line block ×3, first 2 shown]
	v_lshrrev_b32_e32 v50, 16, v16
	v_sub_f16_e32 v51, v8, v10
	v_fma_f16 v26, -0.5, v26, v15
	v_sub_f16_e32 v52, v27, v28
	v_sub_f16_e32 v53, v29, v30
	v_add_f16_e32 v31, v32, v31
	v_fma_f16 v15, -0.5, v33, v15
	v_add_f16_e32 v32, v35, v34
	v_pk_add_f16 v7, v36, v7
	v_add_f16_e32 v33, v29, v30
	v_sub_f16_e32 v34, v27, v29
	v_add_f16_e32 v36, v27, v28
	v_sub_f16_e32 v27, v29, v27
	v_fma_f16 v29, -0.5, v39, v16
	v_fma_f16 v16, -0.5, v46, v16
	v_pk_add_f16 v8, v49, v8
	v_add_f16_e32 v46, v42, v43
	v_sub_f16_e32 v35, v28, v30
	v_sub_f16_e32 v28, v30, v28
	;; [unrolled: 1-line block ×4, first 2 shown]
	v_add_f16_e32 v49, v40, v41
	v_sub_f16_e32 v44, v14, v10
	v_sub_f16_e32 v47, v10, v14
	;; [unrolled: 1-line block ×3, first 2 shown]
	v_pk_add_f16 v8, v8, v10
	v_fma_f16 v10, -0.5, v46, v50
	v_pk_add_f16 v7, v7, v9
	v_fma_f16 v9, -0.5, v33, v37
	v_add_f16_e32 v33, v34, v35
	v_add_f16_e32 v27, v27, v28
	v_fmamk_f16 v28, v30, 0xbb9c, v29
	v_fmamk_f16 v34, v39, 0x3b9c, v16
	v_fmac_f16_e32 v16, 0xbb9c, v39
	v_fmac_f16_e32 v50, -0.5, v49
	v_add_f16_e32 v44, v45, v44
	v_add_f16_e32 v45, v48, v47
	v_sub_f16_e32 v47, v40, v42
	v_sub_f16_e32 v48, v41, v43
	v_pk_add_f16 v8, v8, v14
	v_fmamk_f16 v14, v12, 0x3b9c, v10
	v_sub_f16_e32 v40, v42, v40
	v_sub_f16_e32 v41, v43, v41
	v_fmac_f16_e32 v37, -0.5, v36
	v_fmac_f16_e32 v29, 0x3b9c, v30
	v_fmac_f16_e32 v28, 0xb8b4, v39
	;; [unrolled: 1-line block ×4, first 2 shown]
	v_fmamk_f16 v30, v51, 0xbb9c, v50
	v_fmac_f16_e32 v50, 0x3b9c, v51
	v_fmac_f16_e32 v10, 0xbb9c, v12
	v_sub_f16_e32 v11, v11, v13
	v_add_f16_e32 v35, v47, v48
	v_fmac_f16_e32 v14, 0x38b4, v51
	v_fmamk_f16 v42, v52, 0xbb9c, v26
	v_fmac_f16_e32 v26, 0x3b9c, v52
	v_add_f16_e32 v36, v40, v41
	v_pk_add_f16 v7, v7, v13
	v_fmamk_f16 v40, v38, 0xbb9c, v37
	v_fmac_f16_e32 v37, 0x3b9c, v38
	v_fmac_f16_e32 v28, 0x34f2, v44
	;; [unrolled: 1-line block ×4, first 2 shown]
	v_fmamk_f16 v43, v53, 0x3b9c, v15
	v_fmac_f16_e32 v15, 0xbb9c, v53
	v_fmac_f16_e32 v10, 0xb8b4, v51
	v_fmamk_f16 v13, v11, 0x3b9c, v9
	v_fmac_f16_e32 v14, 0x34f2, v35
	v_fmac_f16_e32 v42, 0xb8b4, v53
	;; [unrolled: 1-line block ×6, first 2 shown]
	v_pk_add_f16 v11, v7, v8
	v_pk_add_f16 v7, v7, v8 neg_lo:[0,1] neg_hi:[0,1]
	v_fmac_f16_e32 v30, 0x34f2, v36
	v_fmac_f16_e32 v50, 0x34f2, v36
	v_mul_f16_e32 v8, 0x38b4, v28
	v_fmac_f16_e32 v43, 0xb8b4, v52
	v_fmac_f16_e32 v15, 0x38b4, v52
	;; [unrolled: 1-line block ×5, first 2 shown]
	v_mul_f16_e32 v12, 0xb8b4, v14
	v_fmac_f16_e32 v42, 0x34f2, v31
	v_fmac_f16_e32 v26, 0x34f2, v31
	;; [unrolled: 1-line block ×6, first 2 shown]
	v_mul_f16_e32 v27, 0xbb9c, v30
	v_mul_f16_e32 v31, 0xbb9c, v50
	v_fmac_f16_e32 v8, 0x3a79, v14
	v_mul_f16_e32 v14, 0x34f2, v30
	v_mul_f16_e32 v30, 0xb4f2, v50
	v_fmac_f16_e32 v43, 0x34f2, v32
	v_fmac_f16_e32 v15, 0x34f2, v32
	;; [unrolled: 1-line block ×4, first 2 shown]
	v_mul_f16_e32 v32, 0xb8b4, v10
	v_mul_f16_e32 v10, 0xba79, v10
	v_fmac_f16_e32 v13, 0x34f2, v33
	v_fmac_f16_e32 v12, 0x3a79, v28
	;; [unrolled: 1-line block ×9, first 2 shown]
	v_add_f16_e32 v28, v13, v8
	v_sub_f16_e32 v8, v13, v8
	v_add_f16_e32 v13, v42, v12
	v_add_f16_e32 v16, v43, v27
	;; [unrolled: 1-line block ×7, first 2 shown]
	v_sub_f16_e32 v12, v42, v12
	v_sub_f16_e32 v27, v43, v27
	;; [unrolled: 1-line block ×7, first 2 shown]
	v_pack_b32_f16 v10, v13, v28
	v_pack_b32_f16 v13, v29, v35
	;; [unrolled: 1-line block ×8, first 2 shown]
	ds_store_2addr_b32 v18, v11, v10 offset1:1
	ds_store_2addr_b32 v18, v16, v13 offset0:2 offset1:3
	ds_store_2addr_b32 v18, v28, v7 offset0:4 offset1:5
	ds_store_2addr_b32 v18, v8, v14 offset0:6 offset1:7
	ds_store_2addr_b32 v18, v12, v9 offset0:8 offset1:9
	global_wb scope:SCOPE_SE
	s_wait_dscnt 0x0
	s_barrier_signal -1
	s_barrier_wait -1
	global_inv scope:SCOPE_SE
	s_clause 0x1
	global_load_b128 v[10:13], v24, s[8:9]
	global_load_b128 v[24:27], v25, s[8:9]
	ds_load_2addr_b32 v[8:9], v0 offset1:85
	v_and_b32_e32 v7, 0xffff, v19
	ds_load_2addr_b32 v[14:15], v23 offset0:84 offset1:169
	ds_load_2addr_b32 v[18:19], v17 offset0:126 offset1:211
	ds_load_2addr_b32 v[28:29], v21 offset0:168 offset1:253
	ds_load_2addr_b32 v[30:31], v0 offset0:170 offset1:255
	v_lshlrev_b32_e32 v16, 2, v20
	v_lshlrev_b32_e32 v20, 2, v22
	global_wb scope:SCOPE_SE
	s_wait_loadcnt_dscnt 0x0
	v_mul_u32_u24_e32 v7, 0xc8, v7
	s_barrier_signal -1
	v_add3_u32 v22, 0, v4, v16
	s_barrier_wait -1
	global_inv scope:SCOPE_SE
	v_add3_u32 v20, 0, v7, v20
	v_lshrrev_b32_e32 v35, 16, v14
	v_lshrrev_b32_e32 v36, 16, v18
	;; [unrolled: 1-line block ×18, first 2 shown]
	v_mul_f16_e32 v47, v39, v32
	v_mul_f16_e32 v48, v40, v35
	;; [unrolled: 1-line block ×16, first 2 shown]
	v_fmac_f16_e32 v47, v10, v30
	v_fmac_f16_e32 v48, v11, v14
	v_fma_f16 v30, v11, v35, -v40
	v_fmac_f16_e32 v49, v12, v18
	v_fma_f16 v12, v12, v36, -v41
	v_fma_f16 v10, v10, v32, -v39
	v_fmac_f16_e32 v50, v13, v28
	v_fma_f16 v18, v13, v37, -v42
	v_fmac_f16_e32 v51, v24, v31
	v_fmac_f16_e32 v52, v15, v25
	v_fma_f16 v4, v4, v25, -v44
	v_fmac_f16_e32 v53, v19, v26
	v_fma_f16 v7, v7, v26, -v45
	;; [unrolled: 2-line block ×3, first 2 shown]
	v_fma_f16 v19, v16, v27, -v46
	v_add_f16_e32 v14, v48, v49
	v_add_f16_e32 v31, v30, v12
	;; [unrolled: 1-line block ×5, first 2 shown]
	v_sub_f16_e32 v24, v10, v18
	v_sub_f16_e32 v15, v47, v48
	;; [unrolled: 1-line block ×3, first 2 shown]
	v_add_f16_e32 v29, v34, v10
	v_sub_f16_e32 v36, v10, v30
	v_sub_f16_e32 v10, v30, v10
	;; [unrolled: 1-line block ×3, first 2 shown]
	v_add_f16_e32 v42, v52, v53
	v_sub_f16_e32 v44, v51, v52
	v_sub_f16_e32 v45, v54, v53
	v_add_f16_e32 v58, v4, v7
	v_add_f16_e32 v41, v9, v51
	;; [unrolled: 1-line block ×4, first 2 shown]
	v_sub_f16_e32 v27, v48, v47
	v_sub_f16_e32 v28, v49, v50
	;; [unrolled: 1-line block ×4, first 2 shown]
	v_add_f16_e32 v57, v33, v11
	v_sub_f16_e32 v60, v11, v4
	v_sub_f16_e32 v63, v4, v11
	v_fma_f16 v11, -0.5, v14, v8
	v_fma_f16 v40, -0.5, v31, v34
	v_sub_f16_e32 v25, v30, v12
	v_sub_f16_e32 v35, v48, v49
	v_add_f16_e32 v13, v13, v48
	v_fma_f16 v14, -0.5, v26, v8
	v_fmac_f16_e32 v34, -0.5, v38
	v_sub_f16_e32 v47, v52, v51
	v_sub_f16_e32 v51, v51, v54
	v_add_f16_e32 v65, v15, v16
	v_add_f16_e32 v15, v29, v30
	;; [unrolled: 1-line block ×3, first 2 shown]
	v_fma_f16 v10, -0.5, v42, v9
	v_add_f16_e32 v30, v44, v45
	v_fma_f16 v45, -0.5, v58, v33
	v_sub_f16_e32 v55, v4, v7
	v_sub_f16_e32 v56, v53, v54
	v_sub_f16_e32 v59, v52, v53
	v_add_f16_e32 v16, v41, v52
	v_fmac_f16_e32 v9, -0.5, v46
	v_fmac_f16_e32 v33, -0.5, v62
	v_sub_f16_e32 v37, v18, v12
	v_add_f16_e32 v26, v27, v28
	v_add_f16_e32 v4, v57, v4
	v_fmamk_f16 v8, v24, 0xbb9c, v11
	v_fmamk_f16 v28, v32, 0x3b9c, v40
	v_add_f16_e32 v38, v13, v49
	v_fmamk_f16 v13, v25, 0x3b9c, v14
	v_fmac_f16_e32 v14, 0xbb9c, v25
	v_fmamk_f16 v44, v35, 0xbb9c, v34
	v_fmac_f16_e32 v34, 0x3b9c, v35
	v_fmac_f16_e32 v11, 0x3b9c, v24
	;; [unrolled: 1-line block ×3, first 2 shown]
	v_sub_f16_e32 v61, v19, v7
	v_add_f16_e32 v12, v15, v12
	v_fmamk_f16 v15, v43, 0xbb9c, v10
	v_fmamk_f16 v46, v51, 0x3b9c, v45
	v_sub_f16_e32 v64, v7, v19
	v_add_f16_e32 v31, v47, v56
	v_add_f16_e32 v39, v16, v53
	v_fmamk_f16 v16, v55, 0x3b9c, v9
	v_fmac_f16_e32 v9, 0xbb9c, v55
	v_fmamk_f16 v47, v59, 0xbb9c, v33
	v_fmac_f16_e32 v33, 0x3b9c, v59
	v_add_f16_e32 v27, v36, v37
	v_fmac_f16_e32 v10, 0x3b9c, v43
	v_add_f16_e32 v41, v4, v7
	v_fmac_f16_e32 v45, 0xbb9c, v51
	v_fmac_f16_e32 v8, 0xb8b4, v25
	;; [unrolled: 1-line block ×9, first 2 shown]
	v_add_f16_e32 v36, v60, v61
	v_fmac_f16_e32 v15, 0xb8b4, v55
	v_fmac_f16_e32 v46, 0x38b4, v59
	v_add_f16_e32 v37, v63, v64
	v_fmac_f16_e32 v16, 0xb8b4, v43
	v_fmac_f16_e32 v9, 0x38b4, v43
	;; [unrolled: 1-line block ×4, first 2 shown]
	v_add_f16_e32 v7, v38, v50
	v_add_f16_e32 v4, v12, v18
	v_add_f16_e32 v12, v39, v54
	v_fmac_f16_e32 v10, 0x38b4, v55
	v_add_f16_e32 v48, v41, v19
	v_fmac_f16_e32 v45, 0xb8b4, v59
	v_fmac_f16_e32 v8, 0x34f2, v65
	;; [unrolled: 1-line block ×17, first 2 shown]
	v_pack_b32_f16 v18, v7, v4
	v_pack_b32_f16 v19, v12, v48
	;; [unrolled: 1-line block ×10, first 2 shown]
	ds_store_2addr_b32 v22, v18, v24 offset1:10
	ds_store_2addr_b32 v22, v25, v26 offset0:20 offset1:30
	ds_store_b32 v22, v27 offset:160
	ds_store_2addr_b32 v20, v19, v29 offset1:10
	ds_store_2addr_b32 v20, v30, v31 offset0:20 offset1:30
	ds_store_b32 v20, v32 offset:160
	global_wb scope:SCOPE_SE
	s_wait_dscnt 0x0
	s_barrier_signal -1
	s_barrier_wait -1
	global_inv scope:SCOPE_SE
                                        ; implicit-def: $vgpr27
                                        ; implicit-def: $vgpr50
                                        ; implicit-def: $vgpr55
                                        ; implicit-def: $vgpr22
                                        ; implicit-def: $vgpr54
                                        ; implicit-def: $vgpr53
                                        ; implicit-def: $vgpr20
                                        ; implicit-def: $vgpr52
                                        ; implicit-def: $vgpr51
                                        ; implicit-def: $vgpr18
                                        ; implicit-def: $vgpr49
	s_and_saveexec_b32 s1, s0
	s_cbranch_execz .LBB0_21
; %bb.20:
	ds_load_2addr_b32 v[7:8], v0 offset1:50
	ds_load_2addr_b32 v[9:10], v23 offset0:144 offset1:194
	ds_load_2addr_b32 v[17:18], v17 offset0:116 offset1:166
	ds_load_2addr_b32 v[19:20], v21 offset0:88 offset1:138
	ds_load_2addr_b32 v[21:22], v21 offset0:188 offset1:238
	ds_load_b32 v50, v0 offset:3200
	ds_load_2addr_b32 v[13:14], v0 offset0:100 offset1:150
	ds_load_2addr_b32 v[11:12], v0 offset0:200 offset1:250
	;; [unrolled: 1-line block ×3, first 2 shown]
	s_wait_dscnt 0x8
	v_lshrrev_b32_e32 v4, 16, v7
	s_wait_dscnt 0x7
	v_lshrrev_b32_e32 v33, 16, v9
	v_lshrrev_b32_e32 v45, 16, v10
	s_wait_dscnt 0x6
	v_lshrrev_b32_e32 v49, 16, v17
	;; [unrolled: 3-line block ×8, first 2 shown]
	v_lshrrev_b32_e32 v47, 16, v16
.LBB0_21:
	s_wait_alu 0xfffe
	s_or_b32 exec_lo, exec_lo, s1
	global_wb scope:SCOPE_SE
	s_barrier_signal -1
	s_barrier_wait -1
	global_inv scope:SCOPE_SE
	s_and_saveexec_b32 s1, s0
	s_cbranch_execz .LBB0_23
; %bb.22:
	v_dual_mov_b32 v24, 0 :: v_dual_lshlrev_b32 v23, 4, v3
	s_delay_alu instid0(VALU_DEP_1) | instskip(NEXT) | instid1(VALU_DEP_1)
	v_add_nc_u32_e32 v25, 0xfffffce0, v23
	v_cndmask_b32_e64 v23, v25, v23, s0
	s_delay_alu instid0(VALU_DEP_1) | instskip(NEXT) | instid1(VALU_DEP_1)
	v_lshlrev_b64_e32 v[23:24], 2, v[23:24]
	v_add_co_u32 v23, s0, s8, v23
	s_wait_alu 0xf1ff
	s_delay_alu instid0(VALU_DEP_2)
	v_add_co_ci_u32_e64 v24, s0, s9, v24, s0
	s_clause 0x3
	global_load_b128 v[59:62], v[23:24], off offset:160
	global_load_b128 v[63:66], v[23:24], off offset:176
	;; [unrolled: 1-line block ×4, first 2 shown]
	s_wait_loadcnt 0x3
	v_lshrrev_b32_e32 v23, 16, v59
	v_lshrrev_b32_e32 v24, 16, v60
	;; [unrolled: 1-line block ×3, first 2 shown]
	s_wait_loadcnt 0x0
	v_lshrrev_b32_e32 v35, 16, v74
	v_lshrrev_b32_e32 v39, 16, v71
	;; [unrolled: 1-line block ×4, first 2 shown]
	v_mul_f16_e32 v58, v8, v23
	v_mul_f16_e32 v57, v50, v35
	v_lshrrev_b32_e32 v26, 16, v62
	v_lshrrev_b32_e32 v29, 16, v63
	;; [unrolled: 1-line block ×9, first 2 shown]
	v_mul_f16_e32 v32, v28, v23
	v_mul_f16_e32 v23, v27, v35
	;; [unrolled: 1-line block ×10, first 2 shown]
	v_fma_f16 v27, v27, v74, -v57
	v_fma_f16 v58, v28, v59, -v58
	v_mul_f16_e32 v77, v21, v37
	v_mul_f16_e32 v80, v11, v26
	;; [unrolled: 1-line block ×20, first 2 shown]
	v_fmac_f16_e32 v32, v8, v59
	v_fmac_f16_e32 v23, v50, v74
	v_fma_f16 v28, v55, v73, -v75
	v_fma_f16 v57, v44, v60, -v76
	v_fma_f16 v56, v34, v61, -v78
	v_fmac_f16_e32 v36, v14, v61
	v_fmac_f16_e32 v25, v21, v72
	v_fma_f16 v21, v53, v71, -v79
	v_add_f16_e32 v61, v58, v27
	v_sub_f16_e32 v53, v58, v27
	v_fmac_f16_e32 v35, v13, v60
	v_fmac_f16_e32 v24, v22, v73
	v_fma_f16 v22, v54, v72, -v77
	v_fmac_f16_e32 v37, v11, v62
	v_fma_f16 v34, v52, v70, -v81
	v_sub_f16_e32 v13, v32, v23
	v_add_f16_e32 v60, v57, v28
	v_add_f16_e32 v11, v32, v23
	v_sub_f16_e32 v52, v57, v28
	v_mul_f16_e64 v154, 0xb1e1, v53
	v_mul_f16_e64 v142, 0xbacd, v61
	v_fma_f16 v55, v40, v62, -v80
	v_fmac_f16_e32 v39, v12, v63
	v_fmac_f16_e32 v41, v10, v67
	v_sub_f16_e32 v12, v35, v24
	v_add_f16_e32 v59, v56, v22
	v_add_f16_e32 v10, v35, v24
	v_sub_f16_e32 v50, v56, v22
	v_mul_f16_e64 v151, 0x35c8, v52
	v_mul_f16_e64 v138, 0x3722, v60
	v_mul_f16_e32 v122, 0xb8d2, v61
	v_mul_f16_e32 v96, 0xbbb2, v53
	;; [unrolled: 1-line block ×3, first 2 shown]
	v_fma_f16 v163, 0xbbdd, v11, v154
	v_fma_f16 v167, 0x3836, v13, v142
	v_fmac_f16_e32 v26, v20, v71
	v_fma_f16 v54, v48, v63, -v82
	v_fma_f16 v40, v51, v69, -v83
	;; [unrolled: 1-line block ×5, first 2 shown]
	v_fmac_f16_e32 v43, v9, v66
	v_sub_f16_e32 v8, v36, v25
	v_add_f16_e32 v9, v36, v25
	v_add_f16_e64 v144, v55, v21
	v_sub_f16_e32 v118, v55, v21
	v_mul_f16_e64 v165, 0xbbdd, v61
	v_mul_f16_e64 v149, 0xb836, v50
	;; [unrolled: 1-line block ×4, first 2 shown]
	v_mul_f16_e32 v119, 0xb461, v60
	v_mul_f16_e32 v114, 0xba62, v53
	;; [unrolled: 1-line block ×7, first 2 shown]
	v_fma_f16 v164, 0x3b76, v10, v151
	v_fma_f16 v168, 0xbb29, v12, v138
	;; [unrolled: 1-line block ×5, first 2 shown]
	v_add_f16_e64 v163, v7, v163
	v_add_f16_e64 v167, v4, v167
	v_fmac_f16_e32 v29, v19, v70
	v_fma_f16 v51, v46, v64, -v84
	v_fmac_f16_e32 v42, v15, v64
	v_sub_f16_e32 v15, v37, v26
	v_add_f16_e32 v14, v37, v26
	v_add_f16_e64 v153, v54, v34
	v_sub_f16_e32 v127, v54, v34
	v_mul_f16_e64 v162, 0x3b76, v60
	v_mul_f16_e64 v128, 0x3b29, v52
	v_mul_f16_e32 v111, 0x3bb2, v52
	v_mul_f16_e32 v105, 0xbacd, v60
	;; [unrolled: 1-line block ×7, first 2 shown]
	v_mul_f16_e64 v160, 0x3964, v118
	v_mul_f16_e64 v140, 0xb8d2, v144
	v_fma_f16 v158, 0x31e1, v13, v165
	v_fma_f16 v171, 0xbacd, v11, v130
	v_fma_f16 v179, 0xbbb2, v12, v119
	v_fma_f16 v180, 0xb8d2, v11, v114
	v_fma_f16 v182, 0x3bb2, v13, v108
	v_fma_f16 v185, 0xbacd, v10, v94
	v_fma_f16 v187, 0x31e1, v12, v91
	v_fma_f16 v188, 0x2de8, v11, v83
	v_fma_f16 v192, 0x3722, v11, v67
	v_fma_f16 v195, 0xbacd, v9, v149
	v_fma_f16 v196, 0x3bf7, v8, v129
	v_add_f16_e64 v163, v164, v163
	v_add_f16_e64 v167, v168, v167
	;; [unrolled: 1-line block ×5, first 2 shown]
	v_fmac_f16_e32 v30, v18, v69
	v_fmac_f16_e32 v38, v16, v65
	;; [unrolled: 1-line block ×3, first 2 shown]
	v_sub_f16_e32 v17, v39, v29
	v_add_f16_e32 v16, v39, v29
	v_add_f16_e64 v170, v51, v40
	v_sub_f16_e64 v141, v51, v40
	v_mul_f16_e64 v152, 0xbacd, v59
	v_mul_f16_e32 v76, 0x3722, v61
	v_mul_f16_e64 v134, 0xbbf7, v50
	v_mul_f16_e32 v116, 0xb5c8, v50
	v_mul_f16_e32 v101, 0x39e9, v59
	;; [unrolled: 1-line block ×4, first 2 shown]
	v_mul_f16_e64 v120, 0xbacd, v144
	v_mul_f16_e32 v99, 0xbb29, v118
	v_mul_f16_e64 v89, 0x3b76, v144
	v_mul_f16_e64 v156, 0xba62, v127
	;; [unrolled: 1-line block ×3, first 2 shown]
	v_fma_f16 v159, 0xb5c8, v12, v162
	v_fma_f16 v172, 0x3722, v10, v128
	;; [unrolled: 1-line block ×11, first 2 shown]
	v_add_f16_e64 v158, v4, v158
	v_add_f16_e64 v171, v7, v171
	;; [unrolled: 1-line block ×11, first 2 shown]
	v_fma_f16 v48, v33, v66, -v88
	v_sub_f16_e32 v19, v42, v30
	v_add_f16_e32 v18, v42, v30
	v_add_f16_e64 v177, v49, v44
	v_sub_f16_e64 v148, v49, v44
	v_mul_f16_e32 v74, 0xb8d2, v60
	v_mul_f16_e64 v166, 0x39e9, v144
	v_mul_f16_e64 v131, 0x3a62, v118
	v_mul_f16_e32 v112, 0xb836, v118
	v_mul_f16_e64 v103, 0x3722, v144
	v_mul_f16_e32 v80, 0x35c8, v118
	v_mul_f16_e32 v64, 0x3bb2, v118
	v_mul_f16_e64 v124, 0x2de8, v153
	v_mul_f16_e32 v98, 0xb1e1, v127
	v_mul_f16_e64 v87, 0x3722, v153
	v_mul_f16_e64 v161, 0x3b29, v141
	;; [unrolled: 1-line block ×3, first 2 shown]
	v_fma_f16 v190, 0x3b29, v13, v76
	v_fma_f16 v194, 0x3836, v8, v152
	;; [unrolled: 1-line block ×9, first 2 shown]
	v_add_f16_e64 v158, v159, v158
	v_fma_f16 v159, 0xb5c8, v15, v89
	v_add_f16_e64 v171, v172, v171
	v_add_f16_e64 v180, v181, v180
	v_fma_f16 v181, 0xb8d2, v16, v156
	v_add_f16_e64 v182, v183, v182
	v_fma_f16 v183, 0x35c8, v17, v137
	v_add_f16_e64 v188, v189, v188
	v_add_f16_e64 v192, v193, v192
	;; [unrolled: 1-line block ×7, first 2 shown]
	v_sub_f16_e32 v33, v38, v31
	v_add_f16_e32 v20, v38, v31
	v_add_f16_e64 v178, v48, v47
	v_sub_f16_e64 v150, v48, v47
	v_mul_f16_e64 v173, 0xb8d2, v153
	v_mul_f16_e64 v133, 0xb5c8, v127
	v_mul_f16_e32 v115, 0x3bf7, v127
	v_mul_f16_e64 v106, 0xbbdd, v153
	v_mul_f16_e32 v82, 0xbb29, v127
	v_mul_f16_e32 v65, 0x3964, v127
	v_mul_f16_e64 v121, 0x39e9, v170
	v_mul_f16_e64 v100, 0x3bf7, v141
	;; [unrolled: 1-line block ×5, first 2 shown]
	v_fma_f16 v191, 0x3a62, v12, v74
	v_fma_f16 v206, 0xb964, v15, v166
	;; [unrolled: 1-line block ×7, first 2 shown]
	v_add_f16_e64 v190, v4, v190
	v_fma_f16 v187, 0xbbf7, v17, v124
	v_fma_f16 v193, 0xbbdd, v16, v98
	v_add_f16_e64 v158, v194, v158
	v_fma_f16 v194, 0x3b29, v17, v87
	v_add_f16_e64 v171, v197, v171
	v_add_f16_e64 v180, v199, v180
	v_fma_f16 v199, 0x3722, v18, v161
	v_add_f16_e64 v182, v200, v182
	v_fma_f16 v200, 0x31e1, v19, v139
	v_add_f16_e64 v188, v203, v188
	v_add_f16_e64 v192, v205, v192
	;; [unrolled: 1-line block ×7, first 2 shown]
	v_sub_f16_e32 v46, v43, v41
	v_add_f16_e32 v45, v43, v41
	v_mul_f16_e32 v75, 0xbbdd, v59
	v_mul_f16_e64 v169, 0x3722, v170
	v_mul_f16_e64 v135, 0xb1e1, v141
	;; [unrolled: 1-line block ×11, first 2 shown]
	v_fma_f16 v179, 0x3a62, v17, v173
	v_fma_f16 v185, 0x3b76, v16, v133
	;; [unrolled: 1-line block ×3, first 2 shown]
	v_add_f16_e64 v190, v191, v190
	v_fma_f16 v191, 0x31e1, v17, v106
	v_fma_f16 v195, 0x3722, v16, v82
	;; [unrolled: 1-line block ×5, first 2 shown]
	v_add_f16_e64 v158, v206, v158
	v_fma_f16 v206, 0x3836, v19, v88
	v_add_f16_e64 v171, v209, v171
	v_add_f16_e64 v180, v211, v180
	v_fma_f16 v211, 0xb461, v20, v155
	v_add_f16_e64 v182, v212, v182
	v_fma_f16 v212, 0xb964, v33, v143
	v_add_f16_e64 v164, v164, v188
	v_add_f16_e64 v172, v172, v192
	;; [unrolled: 1-line block ×7, first 2 shown]
	v_mul_f16_e64 v69, 0xb461, v144
	v_mul_f16_e64 v132, 0x3964, v148
	;; [unrolled: 1-line block ×9, first 2 shown]
	v_fma_f16 v204, 0xb1e1, v8, v75
	v_fma_f16 v198, 0xbb29, v19, v169
	;; [unrolled: 1-line block ×8, first 2 shown]
	v_add_f16_e64 v158, v179, v158
	v_fma_f16 v179, 0xba62, v33, v90
	v_add_f16_e64 v171, v185, v171
	v_add_f16_e64 v180, v189, v180
	v_fma_f16 v189, 0x2de8, v45, v157
	v_add_f16_e64 v182, v191, v182
	v_fma_f16 v191, 0x3bb2, v46, v146
	v_add_f16_e64 v164, v195, v164
	v_add_f16_e64 v172, v197, v172
	v_fma_f16 v199, 0x3964, v13, v147
	v_add_f16_e64 v175, v202, v175
	v_add_f16_e64 v184, v205, v184
	;; [unrolled: 1-line block ×5, first 2 shown]
	v_mul_f16_e64 v71, 0x39e9, v153
	v_mul_f16_e64 v174, 0xb461, v177
	;; [unrolled: 1-line block ×3, first 2 shown]
	v_fma_f16 v168, 0xbbb2, v15, v69
	v_add_f16_e64 v190, v204, v190
	v_fma_f16 v213, 0x39e9, v20, v132
	v_fma_f16 v188, 0xbbdd, v20, v113
	;; [unrolled: 1-line block ×6, first 2 shown]
	v_add_f16_e64 v158, v198, v158
	v_fma_f16 v198, 0xb964, v46, v93
	v_add_f16_e64 v171, v201, v171
	v_fma_f16 v201, 0x3bf7, v12, v145
	v_add_f16_e64 v199, v4, v199
	v_add_f16_e64 v180, v203, v180
	v_add_f16_e64 v164, v207, v164
	v_add_f16_e64 v172, v209, v172
	v_add_f16_e64 v175, v186, v175
	v_add_f16_e64 v184, v192, v184
	v_add_f16_e64 v179, v179, v159
	v_add_f16_e64 v159, v189, v163
	v_add_f16_e64 v163, v191, v167
	v_mul_f16_e64 v191, 0xb8d2, v59
	v_mul_f16_e64 v189, 0xb964, v53
	;; [unrolled: 1-line block ×5, first 2 shown]
	v_fma_f16 v196, 0xb964, v17, v71
	v_fma_f16 v210, 0x3bb2, v33, v174
	v_add_f16_e64 v168, v168, v190
	v_fma_f16 v193, 0xb461, v45, v136
	v_add_f16_e64 v171, v213, v171
	v_add_f16_e64 v180, v188, v180
	;; [unrolled: 1-line block ×8, first 2 shown]
	v_fma_f16 v181, 0x3a62, v8, v191
	v_mul_f16_e64 v192, 0xbbdd, v144
	v_fma_f16 v184, 0x39e9, v11, v189
	v_mul_f16_e64 v188, 0xbbf7, v52
	v_mul_f16_e64 v107, 0x3b76, v177
	;; [unrolled: 1-line block ×4, first 2 shown]
	v_fma_f16 v204, 0xbbf7, v19, v104
	v_fma_f16 v208, 0x35c8, v19, v72
	;; [unrolled: 1-line block ×3, first 2 shown]
	v_add_f16_e64 v168, v196, v168
	v_add_f16_e64 v158, v210, v158
	;; [unrolled: 1-line block ×4, first 2 shown]
	v_fma_f16 v181, 0x31e1, v15, v192
	v_mul_f16_e64 v193, 0xbacd, v153
	v_add_f16_e64 v185, v7, v184
	v_fma_f16 v186, 0x2de8, v10, v188
	v_mul_f16_e64 v184, 0xba62, v50
	v_mul_f16_e64 v109, 0xb8d2, v178
	v_fma_f16 v190, 0x35c8, v33, v107
	v_fma_f16 v183, 0x3bf7, v33, v73
	v_fma_f16 v195, 0x3722, v45, v117
	v_add_f16_e64 v182, v204, v182
	v_add_f16_e64 v168, v208, v168
	;; [unrolled: 1-line block ×4, first 2 shown]
	v_fma_f16 v181, 0xb836, v17, v193
	v_mul_f16_e64 v194, 0xb461, v170
	v_add_f16_e64 v186, v186, v185
	v_fma_f16 v187, 0xb8d2, v9, v184
	v_mul_f16_e64 v185, 0xb1e1, v118
	v_fma_f16 v196, 0x3a62, v46, v109
	v_add_f16_e64 v182, v190, v182
	v_add_f16_e64 v183, v183, v168
	;; [unrolled: 1-line block ×4, first 2 shown]
	v_fma_f16 v181, 0xbbb2, v19, v194
	v_mul_f16_e64 v190, 0x3722, v177
	v_add_f16_e64 v187, v187, v186
	v_fma_f16 v195, 0xbbdd, v14, v185
	v_mul_f16_e64 v186, 0x3836, v127
	v_mul_f16_e64 v77, 0xbacd, v178
	v_add_f16_e64 v171, v196, v182
	v_add_f16_e64 v196, v181, v179
	v_fma_f16 v197, 0xbb29, v33, v190
	v_mul_f16_e64 v181, 0x3b76, v178
	v_add_f16_e64 v195, v195, v187
	v_fma_f16 v198, 0xbacd, v16, v186
	v_mul_f16_e64 v187, 0x3bb2, v141
	v_fma_f16 v180, 0x3836, v46, v77
	v_add_f16_e64 v196, v197, v196
	v_fma_f16 v197, 0xb5c8, v46, v181
	v_add_f16_e64 v198, v198, v195
	v_fma_f16 v199, 0xb461, v18, v187
	v_mul_f16_e64 v195, 0x3b76, v61
	v_mul_f16_e64 v61, 0x3b29, v148
	v_add_f16_e32 v32, v7, v32
	v_add_f16_e64 v180, v180, v183
	v_add_f16_e64 v183, v197, v196
	;; [unrolled: 1-line block ×4, first 2 shown]
	v_fma_f16 v198, 0x35c8, v13, v195
	v_mul_f16_e32 v58, 0x39e9, v60
	v_fmamk_f16 v60, v20, 0x3722, v61
	v_add_f16_e32 v32, v32, v35
	v_add_f16_e64 v35, v197, v57
	v_add_f16_e64 v197, v4, v198
	v_fma_f16 v198, 0x3964, v12, v58
	v_mul_f16_e32 v57, 0x3722, v59
	v_add_f16_e64 v59, v60, v196
	v_add_f16_e32 v60, v32, v36
	v_add_f16_e32 v35, v35, v56
	v_add_f16_e64 v56, v198, v197
	v_fma_f16 v196, 0x3b29, v8, v57
	v_mul_f16_e64 v36, 0x2de8, v144
	v_mul_f16_e64 v32, 0x35c8, v150
	v_add_f16_e32 v60, v60, v37
	v_add_f16_e32 v35, v35, v55
	v_add_f16_e64 v55, v196, v56
	v_fmamk_f16 v56, v15, 0x3bf7, v36
	v_mul_f16_e64 v37, 0xb461, v153
	v_fma_f16 v144, 0x3b76, v45, v32
	v_add_f16_e32 v60, v60, v39
	v_add_f16_e32 v54, v35, v54
	;; [unrolled: 1-line block ×3, first 2 shown]
	v_fmamk_f16 v56, v17, 0x3bb2, v37
	v_mul_f16_e64 v39, 0xb8d2, v170
	v_add_f16_e64 v35, v144, v59
	v_add_f16_e32 v59, v60, v42
	v_add_f16_e32 v51, v54, v51
	;; [unrolled: 1-line block ×3, first 2 shown]
	v_fmamk_f16 v55, v19, 0x3a62, v39
	v_mul_f16_e32 v42, 0xb5c8, v53
	v_add_f16_e32 v53, v59, v38
	v_add_f16_e32 v51, v51, v49
	v_mul_f16_e32 v49, 0xb964, v52
	v_add_f16_e32 v54, v55, v54
	v_fmamk_f16 v55, v11, 0x3b76, v42
	v_add_f16_e32 v43, v53, v43
	v_add_f16_e32 v48, v51, v48
	v_fmamk_f16 v53, v10, 0x39e9, v49
	v_mul_f16_e32 v50, 0xbb29, v50
	v_add_f16_e32 v51, v7, v55
	v_add_f16_e32 v41, v43, v41
	;; [unrolled: 1-line block ×3, first 2 shown]
	v_fmac_f16_e64 v165, 0xb1e1, v13
	v_fmamk_f16 v48, v9, 0x3722, v50
	v_add_f16_e32 v47, v53, v51
	v_mul_f16_e32 v51, 0xbbf7, v118
	v_add_f16_e32 v41, v41, v31
	v_add_f16_e32 v43, v43, v44
	v_fmac_f16_e64 v162, 0x35c8, v12
	v_add_f16_e32 v44, v48, v47
	v_fmamk_f16 v47, v14, 0x2de8, v51
	v_mul_f16_e32 v48, 0xbbb2, v127
	v_add_f16_e32 v41, v41, v30
	v_add_f16_e32 v40, v43, v40
	v_fmac_f16_e64 v142, 0xb836, v13
	v_add_f16_e32 v43, v47, v44
	v_fmamk_f16 v44, v16, 0xb461, v48
	v_add_f16_e32 v29, v41, v29
	v_mul_f16_e64 v41, 0xba62, v141
	v_add_f16_e32 v34, v40, v34
	v_fmac_f16_e64 v138, 0x3b29, v12
	v_add_f16_e32 v40, v44, v43
	v_add_f16_e32 v26, v29, v26
	v_fmamk_f16 v29, v18, 0xb8d2, v41
	v_mul_f16_e64 v43, 0xb836, v148
	v_add_f16_e32 v21, v34, v21
	v_add_f16_e64 v34, v4, v165
	v_add_f16_e32 v25, v26, v25
	v_add_f16_e32 v29, v29, v40
	v_fmamk_f16 v40, v20, 0xbacd, v43
	v_add_f16_e32 v21, v21, v22
	v_add_f16_e64 v22, v162, v34
	v_add_f16_e32 v24, v25, v24
	v_mul_f16_e64 v25, 0xb1e1, v150
	v_add_f16_e32 v26, v40, v29
	v_fma_f16 v29, v11, 0xbbdd, -v154
	v_fma_f16 v34, v10, 0x3b76, -v151
	v_add_f16_e32 v21, v21, v28
	v_fmamk_f16 v28, v45, 0xbbdd, v25
	v_add_f16_e32 v23, v24, v23
	v_add_f16_e32 v29, v7, v29
	v_fmac_f16_e64 v129, 0xbbf7, v8
	v_add_f16_e32 v21, v21, v27
	v_add_f16_e32 v26, v28, v26
	v_fma_f16 v28, v14, 0x39e9, -v160
	v_add_f16_e32 v29, v34, v29
	v_fma_f16 v34, v9, 0xbacd, -v149
	v_fma_f16 v27, v16, 0xb8d2, -v156
	v_fmac_f16_e64 v140, 0x3a62, v15
	v_fmac_f16_e64 v137, 0xb5c8, v17
	v_fmac_f16_e32 v122, 0xba62, v13
	v_add_f16_e32 v24, v34, v29
	v_fma_f16 v29, v11, 0xbacd, -v130
	v_fma_f16 v34, v10, 0x3722, -v128
	v_fmac_f16_e32 v119, 0x3bb2, v12
	v_fmac_f16_e32 v125, 0xb5c8, v8
	v_add_f16_e32 v24, v28, v24
	v_add_f16_e64 v28, v4, v142
	v_add_f16_e32 v29, v7, v29
	v_fmac_f16_e32 v120, 0xb836, v15
	v_fma_f16 v40, v11, 0xb8d2, -v114
	v_add_f16_e32 v24, v27, v24
	v_fma_f16 v27, v18, 0x3722, -v161
	v_add_f16_e64 v28, v138, v28
	v_add_f16_e32 v29, v34, v29
	v_fma_f16 v34, v9, 0x2de8, -v134
	v_fmac_f16_e32 v124, 0x3bf7, v17
	v_add_f16_e32 v24, v27, v24
	v_fma_f16 v27, v20, 0xb461, -v155
	v_add_f16_e64 v28, v129, v28
	v_add_f16_e32 v40, v7, v40
	v_fma_f16 v44, v10, 0xb461, -v111
	v_mul_f16_e64 v38, 0xbacd, v177
	v_add_f16_e32 v24, v27, v24
	v_fma_f16 v27, v45, 0x2de8, -v157
	v_add_f16_e64 v28, v140, v28
	v_fmac_f16_e32 v121, 0xb964, v19
	v_add_f16_e32 v40, v44, v40
	v_fma_f16 v44, v9, 0x3b76, -v116
	v_add_f16_e32 v24, v27, v24
	v_add_f16_e64 v27, v137, v28
	v_add_f16_e32 v28, v34, v29
	v_fma_f16 v29, v14, 0xb8d2, -v131
	v_add_f16_e32 v34, v4, v122
	v_fmac_f16_e32 v108, 0xbbb2, v13
	v_fmamk_f16 v52, v33, 0x3836, v38
	v_mul_f16_e64 v31, 0xbbdd, v178
	v_add_f16_e32 v28, v29, v28
	v_fma_f16 v29, v16, 0x3b76, -v133
	v_add_f16_e32 v34, v119, v34
	v_fmac_f16_e32 v105, 0x3836, v12
	v_add_f16_e32 v52, v52, v54
	v_fmamk_f16 v53, v46, 0x31e1, v31
	v_add_f16_e32 v28, v29, v28
	v_fma_f16 v29, v18, 0xbbdd, -v135
	v_add_f16_e32 v34, v125, v34
	v_fmac_f16_e32 v101, 0x3964, v8
	v_fma_f16 v47, v11, 0xb461, -v96
	v_add_f16_e32 v30, v53, v52
	v_add_f16_e32 v28, v29, v28
	v_fma_f16 v29, v20, 0x39e9, -v132
	v_add_f16_e32 v34, v120, v34
	v_fmac_f16_e32 v103, 0xbb29, v15
	v_add_f16_e32 v47, v7, v47
	v_fma_f16 v52, v10, 0xbacd, -v94
	v_add_f16_e32 v28, v29, v28
	v_fma_f16 v29, v45, 0xb461, -v136
	v_add_f16_e32 v34, v124, v34
	v_fmac_f16_e32 v106, 0xb1e1, v17
	v_add_f16_e32 v47, v52, v47
	v_fma_f16 v52, v9, 0x39e9, -v97
	v_add_f16_e32 v28, v29, v28
	v_add_f16_e32 v29, v121, v34
	;; [unrolled: 1-line block ×3, first 2 shown]
	v_fma_f16 v40, v14, 0xbacd, -v112
	v_add_f16_e32 v44, v4, v108
	v_fmac_f16_e32 v104, 0x3bf7, v19
	v_add_f16_e32 v47, v52, v47
	v_fma_f16 v52, v14, 0x3722, -v99
	v_add_f16_e32 v34, v40, v34
	v_fma_f16 v40, v16, 0x2de8, -v115
	v_add_f16_e32 v44, v105, v44
	v_fmac_f16_e32 v92, 0xbbf7, v13
	v_fmac_f16_e32 v91, 0xb1e1, v12
	;; [unrolled: 1-line block ×3, first 2 shown]
	v_add_f16_e32 v34, v40, v34
	v_fma_f16 v40, v18, 0x39e9, -v110
	v_add_f16_e32 v44, v101, v44
	v_fma_f16 v53, v11, 0x2de8, -v83
	v_fmac_f16_e32 v89, 0x35c8, v15
	v_fma_f16 v54, v10, 0xbbdd, -v81
	v_add_f16_e32 v34, v40, v34
	v_fma_f16 v40, v20, 0xbbdd, -v113
	v_add_f16_e32 v44, v103, v44
	v_add_f16_e32 v53, v7, v53
	v_fmac_f16_e32 v87, 0xbb29, v17
	v_fmac_f16_e32 v76, 0xbb29, v13
	v_add_f16_e32 v34, v40, v34
	v_fma_f16 v40, v45, 0x3722, -v117
	v_add_f16_e32 v44, v106, v44
	v_add_f16_e32 v53, v54, v53
	v_fma_f16 v54, v9, 0xb461, -v84
	v_fmac_f16_e32 v74, 0xba62, v12
	v_add_f16_e32 v34, v40, v34
	v_add_f16_e32 v40, v104, v44
	;; [unrolled: 1-line block ×3, first 2 shown]
	v_fma_f16 v47, v16, 0xbbdd, -v98
	v_add_f16_e32 v52, v4, v92
	v_fmac_f16_e32 v75, 0x31e1, v8
	v_fmac_f16_e32 v69, 0x3bb2, v15
	v_fma_f16 v55, v11, 0x3722, -v67
	v_add_f16_e32 v44, v47, v44
	v_fma_f16 v47, v18, 0x2de8, -v100
	v_add_f16_e32 v52, v91, v52
	v_fmac_f16_e64 v147, 0xb964, v13
	v_fmac_f16_e64 v145, 0xbbf7, v12
	;; [unrolled: 1-line block ×3, first 2 shown]
	v_add_f16_e32 v44, v47, v44
	v_fma_f16 v47, v20, 0x3b76, -v95
	v_add_f16_e32 v52, v86, v52
	v_add_f16_e64 v56, v4, v147
	v_fmac_f16_e64 v192, 0xb1e1, v15
	v_mul_f16_e64 v79, 0x3964, v150
	v_add_f16_e32 v44, v47, v44
	v_fma_f16 v47, v45, 0xb8d2, -v102
	v_add_f16_e32 v52, v89, v52
	v_add_f16_e64 v56, v145, v56
	v_fma_f16 v59, v20, 0xb8d2, -v78
	v_fmac_f16_e64 v193, 0x3836, v17
	v_add_f16_e32 v44, v47, v44
	v_add_f16_e32 v47, v87, v52
	;; [unrolled: 1-line block ×3, first 2 shown]
	v_fma_f16 v53, v14, 0x3b76, -v80
	v_add_f16_e32 v54, v4, v76
	v_add_f16_e64 v56, v191, v56
	v_fmac_f16_e64 v194, 0x3bb2, v19
	v_fmac_f16_e64 v190, 0x3b29, v33
	v_add_f16_e32 v52, v53, v52
	v_fma_f16 v53, v16, 0x3722, -v82
	v_add_f16_e32 v54, v74, v54
	v_add_f16_e64 v56, v192, v56
	v_fmac_f16_e64 v195, 0xb5c8, v13
	v_fmac_f16_e64 v152, 0xb836, v8
	v_add_f16_e32 v52, v53, v52
	v_fma_f16 v53, v18, 0xbacd, -v85
	v_add_f16_e32 v54, v75, v54
	v_add_f16_e64 v56, v193, v56
	v_add_f16_e64 v4, v4, v195
	v_fmac_f16_e32 v58, 0xb964, v12
	v_add_f16_e32 v52, v53, v52
	v_add_f16_e32 v53, v69, v54
	;; [unrolled: 1-line block ×3, first 2 shown]
	v_fma_f16 v55, v10, 0xb8d2, -v62
	v_add_f16_e64 v56, v194, v56
	v_add_f16_e32 v52, v59, v52
	v_fma_f16 v59, v45, 0x39e9, -v79
	v_fmac_f16_e32 v57, 0xbb29, v8
	v_add_f16_e32 v54, v55, v54
	v_fma_f16 v55, v9, 0xbbdd, -v63
	v_fma_f16 v8, v10, 0x39e9, -v49
	v_add_f16_e32 v52, v59, v52
	v_fma_f16 v59, v11, 0x39e9, -v189
	v_fma_f16 v11, v11, 0x3b76, -v42
	v_add_f16_e32 v54, v55, v54
	v_fma_f16 v55, v14, 0xb461, -v64
	v_fma_f16 v42, v9, 0xb8d2, -v184
	v_add_f16_e32 v4, v58, v4
	v_add_f16_e64 v22, v152, v22
	v_fmac_f16_e64 v166, 0x3964, v15
	v_add_f16_e32 v54, v55, v54
	v_fma_f16 v55, v16, 0x39e9, -v65
	v_add_f16_e32 v4, v57, v4
	v_fmac_f16_e32 v36, 0xbbf7, v15
	v_add_f16_e64 v22, v166, v22
	v_fmac_f16_e64 v173, 0xba62, v17
	v_add_f16_e32 v54, v55, v54
	v_fma_f16 v55, v18, 0x3b76, -v66
	v_fmac_f16_e32 v71, 0x3964, v17
	v_add_f16_e32 v4, v36, v4
	v_fmac_f16_e32 v37, 0xbbb2, v17
	v_add_f16_e64 v22, v173, v22
	v_add_f16_e32 v54, v55, v54
	v_fma_f16 v55, v20, 0x2de8, -v68
	v_fmac_f16_e64 v169, 0x3b29, v19
	v_mul_f16_e64 v70, 0xb836, v150
	v_fmac_f16_e64 v139, 0xb1e1, v19
	v_fmac_f16_e32 v88, 0xb836, v19
	v_add_f16_e32 v54, v55, v54
	v_add_f16_e64 v55, v190, v56
	v_add_f16_e32 v56, v7, v59
	v_fma_f16 v59, v10, 0x2de8, -v188
	v_add_f16_e32 v7, v7, v11
	v_fma_f16 v11, v14, 0xbbdd, -v185
	v_add_f16_e32 v53, v71, v53
	v_fmac_f16_e32 v72, 0xb5c8, v19
	v_add_f16_e32 v12, v59, v56
	v_add_f16_e32 v7, v8, v7
	v_fma_f16 v8, v9, 0x3722, -v50
	v_add_f16_e32 v4, v37, v4
	v_fmac_f16_e32 v39, 0xba62, v19
	v_add_f16_e32 v10, v42, v12
	v_add_f16_e64 v22, v169, v22
	v_add_f16_e32 v7, v8, v7
	v_fma_f16 v8, v14, 0x2de8, -v51
	v_fmac_f16_e64 v174, 0xbbb2, v33
	v_add_f16_e32 v9, v11, v10
	v_fma_f16 v10, v16, 0xbacd, -v186
	v_fma_f16 v182, 0xbacd, v45, v70
	v_add_f16_e32 v7, v8, v7
	v_fma_f16 v8, v16, 0xb461, -v48
	v_add_f16_e64 v27, v139, v27
	v_add_f16_e32 v9, v10, v9
	v_fma_f16 v10, v18, 0xb461, -v187
	v_fmac_f16_e64 v143, 0x3964, v33
	v_add_f16_e32 v7, v8, v7
	v_fma_f16 v8, v18, 0xb8d2, -v41
	v_fmac_f16_e32 v123, 0xb1e1, v33
	v_add_f16_e32 v9, v10, v9
	v_fma_f16 v10, v20, 0x3722, -v61
	v_fma_f16 v200, 0x39e9, v45, v79
	v_fmac_f16_e32 v107, 0xb5c8, v33
	v_add_f16_e32 v47, v88, v47
	v_fmac_f16_e32 v90, 0x3a62, v33
	v_add_f16_e32 v53, v72, v53
	;; [unrolled: 2-line block ×4, first 2 shown]
	v_fma_f16 v8, v20, 0xbacd, -v43
	v_add_f16_e64 v22, v174, v22
	v_fmac_f16_e64 v176, 0x3bf7, v46
	v_fma_f16 v13, v45, 0xbacd, -v70
	v_add_f16_e32 v9, v10, v9
	v_fma_f16 v10, v45, 0x3b76, -v32
	v_add_f16_e64 v182, v182, v203
	v_add_f16_e64 v27, v143, v27
	v_fmac_f16_e64 v146, 0xbbb2, v46
	v_add_f16_e32 v29, v123, v29
	v_fmac_f16_e32 v126, 0x3b29, v46
	v_add_f16_e64 v179, v200, v202
	v_add_f16_e32 v40, v107, v40
	v_fmac_f16_e32 v109, 0xba62, v46
	v_add_f16_e32 v47, v90, v47
	v_fmac_f16_e32 v93, 0x3964, v46
	;; [unrolled: 2-line block ×3, first 2 shown]
	v_fmac_f16_e64 v181, 0x35c8, v46
	v_add_f16_e32 v4, v38, v4
	v_fmac_f16_e32 v31, 0xb1e1, v46
	v_add_f16_e32 v7, v8, v7
	v_fma_f16 v8, v45, 0xbbdd, -v25
	v_add_f16_e64 v22, v176, v22
	v_add_f16_e32 v11, v13, v54
	v_add_f16_e32 v9, v10, v9
	v_pack_b32_f16 v10, v23, v21
	v_pack_b32_f16 v13, v26, v30
	v_add_f16_e64 v27, v146, v27
	v_add_f16_e32 v29, v126, v29
	v_pack_b32_f16 v14, v35, v183
	v_pack_b32_f16 v15, v182, v180
	v_add_f16_e32 v40, v109, v40
	v_add_f16_e32 v47, v93, v47
	v_pack_b32_f16 v16, v179, v175
	v_pack_b32_f16 v17, v172, v171
	v_add_f16_e32 v53, v77, v53
	v_add_f16_e64 v12, v181, v55
	v_pack_b32_f16 v18, v168, v167
	v_pack_b32_f16 v19, v164, v163
	v_add_nc_u32_e32 v20, 0x400, v0
	v_add_f16_e32 v4, v31, v4
	v_add_f16_e32 v7, v8, v7
	ds_store_2addr_b32 v0, v10, v13 offset1:50
	ds_store_2addr_b32 v0, v14, v15 offset0:100 offset1:150
	ds_store_2addr_b32 v0, v16, v17 offset0:200 offset1:250
	;; [unrolled: 1-line block ×3, first 2 shown]
	v_pack_b32_f16 v8, v159, v158
	v_pack_b32_f16 v10, v24, v22
	;; [unrolled: 1-line block ×4, first 2 shown]
	v_add_nc_u32_e32 v15, 0x600, v0
	v_pack_b32_f16 v16, v44, v40
	v_pack_b32_f16 v17, v52, v47
	v_add_nc_u32_e32 v18, 0x800, v0
	v_pack_b32_f16 v11, v11, v53
	v_pack_b32_f16 v9, v9, v12
	;; [unrolled: 1-line block ×3, first 2 shown]
	ds_store_2addr_b32 v20, v8, v10 offset0:144 offset1:194
	ds_store_2addr_b32 v15, v13, v14 offset0:116 offset1:166
	ds_store_2addr_b32 v18, v16, v17 offset0:88 offset1:138
	ds_store_2addr_b32 v18, v11, v9 offset0:188 offset1:238
	ds_store_b32 v0, v4 offset:3200
.LBB0_23:
	s_wait_alu 0xfffe
	s_or_b32 exec_lo, exec_lo, s1
	global_wb scope:SCOPE_SE
	s_wait_dscnt 0x0
	s_barrier_signal -1
	s_barrier_wait -1
	global_inv scope:SCOPE_SE
	s_and_saveexec_b32 s0, vcc_lo
	s_cbranch_execz .LBB0_25
; %bb.24:
	v_mul_lo_u32 v0, s3, v5
	v_mul_lo_u32 v7, s2, v6
	v_mad_co_u64_u32 v[5:6], null, s2, v5, 0
	v_mov_b32_e32 v4, 0
	v_lshl_add_u32 v29, v3, 2, 0
	v_add_nc_u32_e32 v21, 0x1fe, v3
	v_add_nc_u32_e32 v23, 0x253, v3
	v_add_nc_u32_e32 v27, 0x2a8, v3
	v_add_nc_u32_e32 v19, 0x1a9, v3
	v_add3_u32 v6, v6, v7, v0
	v_add_nc_u32_e32 v7, 0x55, v3
	v_lshlrev_b64_e32 v[0:1], 2, v[1:2]
	v_dual_mov_b32 v8, v4 :: v_dual_add_nc_u32 v9, 0xaa, v3
	s_delay_alu instid0(VALU_DEP_4)
	v_lshlrev_b64_e32 v[5:6], 2, v[5:6]
	v_lshlrev_b64_e32 v[15:16], 2, v[3:4]
	v_dual_mov_b32 v10, v4 :: v_dual_add_nc_u32 v11, 0xff, v3
	v_mov_b32_e32 v12, v4
	v_mov_b32_e32 v20, v4
	v_add_co_u32 v2, vcc_lo, s6, v5
	s_wait_alu 0xfffd
	v_add_co_ci_u32_e32 v5, vcc_lo, s7, v6, vcc_lo
	v_mov_b32_e32 v22, v4
	s_delay_alu instid0(VALU_DEP_3) | instskip(SKIP_1) | instid1(VALU_DEP_3)
	v_add_co_u32 v31, vcc_lo, v2, v0
	s_wait_alu 0xfffd
	v_add_co_ci_u32_e32 v32, vcc_lo, v5, v1, vcc_lo
	v_lshlrev_b64_e32 v[0:1], 2, v[7:8]
	s_delay_alu instid0(VALU_DEP_3)
	v_add_co_u32 v5, vcc_lo, v31, v15
	v_lshlrev_b64_e32 v[7:8], 2, v[9:10]
	s_wait_alu 0xfffd
	v_add_co_ci_u32_e32 v6, vcc_lo, v32, v16, vcc_lo
	v_dual_mov_b32 v16, v4 :: v_dual_add_nc_u32 v15, 0x154, v3
	v_add_nc_u32_e32 v2, 0x400, v29
	v_add_co_u32 v0, vcc_lo, v31, v0
	v_lshlrev_b64_e32 v[11:12], 2, v[11:12]
	s_wait_alu 0xfffd
	v_add_co_ci_u32_e32 v1, vcc_lo, v32, v1, vcc_lo
	v_add_co_u32 v7, vcc_lo, v31, v7
	v_lshlrev_b64_e32 v[15:16], 2, v[15:16]
	ds_load_2addr_b32 v[17:18], v2 offset0:84 offset1:169
	v_add_nc_u32_e32 v2, 0x600, v29
	s_wait_alu 0xfffd
	v_add_co_ci_u32_e32 v8, vcc_lo, v32, v8, vcc_lo
	ds_load_2addr_b32 v[13:14], v29 offset1:85
	v_add_co_u32 v11, vcc_lo, v31, v11
	v_lshlrev_b64_e32 v[19:20], 2, v[19:20]
	v_mov_b32_e32 v24, v4
	ds_load_2addr_b32 v[9:10], v29 offset0:170 offset1:255
	s_wait_alu 0xfffd
	v_add_co_ci_u32_e32 v12, vcc_lo, v32, v12, vcc_lo
	v_add_co_u32 v15, vcc_lo, v31, v15
	ds_load_2addr_b32 v[25:26], v2 offset0:126 offset1:211
	v_lshlrev_b64_e32 v[21:22], 2, v[21:22]
	v_add_nc_u32_e32 v2, 0x800, v29
	v_dual_mov_b32 v28, v4 :: v_dual_add_nc_u32 v3, 0x2fd, v3
	s_wait_alu 0xfffd
	v_add_co_ci_u32_e32 v16, vcc_lo, v32, v16, vcc_lo
	v_add_co_u32 v19, vcc_lo, v31, v19
	v_lshlrev_b64_e32 v[23:24], 2, v[23:24]
	s_wait_alu 0xfffd
	v_add_co_ci_u32_e32 v20, vcc_lo, v32, v20, vcc_lo
	ds_load_2addr_b32 v[29:30], v2 offset0:168 offset1:253
	v_add_co_u32 v21, vcc_lo, v31, v21
	v_lshlrev_b64_e32 v[27:28], 2, v[27:28]
	s_wait_alu 0xfffd
	v_add_co_ci_u32_e32 v22, vcc_lo, v32, v22, vcc_lo
	v_add_co_u32 v23, vcc_lo, v31, v23
	v_lshlrev_b64_e32 v[2:3], 2, v[3:4]
	s_wait_alu 0xfffd
	v_add_co_ci_u32_e32 v24, vcc_lo, v32, v24, vcc_lo
	v_add_co_u32 v27, vcc_lo, v31, v27
	s_wait_alu 0xfffd
	v_add_co_ci_u32_e32 v28, vcc_lo, v32, v28, vcc_lo
	v_add_co_u32 v2, vcc_lo, v31, v2
	s_wait_alu 0xfffd
	v_add_co_ci_u32_e32 v3, vcc_lo, v32, v3, vcc_lo
	s_wait_dscnt 0x3
	s_clause 0x1
	global_store_b32 v[5:6], v13, off
	global_store_b32 v[0:1], v14, off
	s_wait_dscnt 0x2
	s_clause 0x3
	global_store_b32 v[7:8], v9, off
	global_store_b32 v[11:12], v10, off
	;; [unrolled: 1-line block ×4, first 2 shown]
	s_wait_dscnt 0x1
	s_clause 0x1
	global_store_b32 v[21:22], v25, off
	global_store_b32 v[23:24], v26, off
	s_wait_dscnt 0x0
	s_clause 0x1
	global_store_b32 v[27:28], v29, off
	global_store_b32 v[2:3], v30, off
.LBB0_25:
	s_nop 0
	s_sendmsg sendmsg(MSG_DEALLOC_VGPRS)
	s_endpgm
	.section	.rodata,"a",@progbits
	.p2align	6, 0x0
	.amdhsa_kernel fft_rtc_back_len850_factors_10_5_17_wgs_85_tpt_85_half_op_CI_CI_unitstride_sbrr_C2R_dirReg
		.amdhsa_group_segment_fixed_size 0
		.amdhsa_private_segment_fixed_size 0
		.amdhsa_kernarg_size 104
		.amdhsa_user_sgpr_count 2
		.amdhsa_user_sgpr_dispatch_ptr 0
		.amdhsa_user_sgpr_queue_ptr 0
		.amdhsa_user_sgpr_kernarg_segment_ptr 1
		.amdhsa_user_sgpr_dispatch_id 0
		.amdhsa_user_sgpr_private_segment_size 0
		.amdhsa_wavefront_size32 1
		.amdhsa_uses_dynamic_stack 0
		.amdhsa_enable_private_segment 0
		.amdhsa_system_sgpr_workgroup_id_x 1
		.amdhsa_system_sgpr_workgroup_id_y 0
		.amdhsa_system_sgpr_workgroup_id_z 0
		.amdhsa_system_sgpr_workgroup_info 0
		.amdhsa_system_vgpr_workitem_id 0
		.amdhsa_next_free_vgpr 214
		.amdhsa_next_free_sgpr 39
		.amdhsa_reserve_vcc 1
		.amdhsa_float_round_mode_32 0
		.amdhsa_float_round_mode_16_64 0
		.amdhsa_float_denorm_mode_32 3
		.amdhsa_float_denorm_mode_16_64 3
		.amdhsa_fp16_overflow 0
		.amdhsa_workgroup_processor_mode 1
		.amdhsa_memory_ordered 1
		.amdhsa_forward_progress 0
		.amdhsa_round_robin_scheduling 0
		.amdhsa_exception_fp_ieee_invalid_op 0
		.amdhsa_exception_fp_denorm_src 0
		.amdhsa_exception_fp_ieee_div_zero 0
		.amdhsa_exception_fp_ieee_overflow 0
		.amdhsa_exception_fp_ieee_underflow 0
		.amdhsa_exception_fp_ieee_inexact 0
		.amdhsa_exception_int_div_zero 0
	.end_amdhsa_kernel
	.text
.Lfunc_end0:
	.size	fft_rtc_back_len850_factors_10_5_17_wgs_85_tpt_85_half_op_CI_CI_unitstride_sbrr_C2R_dirReg, .Lfunc_end0-fft_rtc_back_len850_factors_10_5_17_wgs_85_tpt_85_half_op_CI_CI_unitstride_sbrr_C2R_dirReg
                                        ; -- End function
	.section	.AMDGPU.csdata,"",@progbits
; Kernel info:
; codeLenInByte = 13220
; NumSgprs: 41
; NumVgprs: 214
; ScratchSize: 0
; MemoryBound: 0
; FloatMode: 240
; IeeeMode: 1
; LDSByteSize: 0 bytes/workgroup (compile time only)
; SGPRBlocks: 5
; VGPRBlocks: 26
; NumSGPRsForWavesPerEU: 41
; NumVGPRsForWavesPerEU: 214
; Occupancy: 7
; WaveLimiterHint : 1
; COMPUTE_PGM_RSRC2:SCRATCH_EN: 0
; COMPUTE_PGM_RSRC2:USER_SGPR: 2
; COMPUTE_PGM_RSRC2:TRAP_HANDLER: 0
; COMPUTE_PGM_RSRC2:TGID_X_EN: 1
; COMPUTE_PGM_RSRC2:TGID_Y_EN: 0
; COMPUTE_PGM_RSRC2:TGID_Z_EN: 0
; COMPUTE_PGM_RSRC2:TIDIG_COMP_CNT: 0
	.text
	.p2alignl 7, 3214868480
	.fill 96, 4, 3214868480
	.type	__hip_cuid_752079b4bada6617,@object ; @__hip_cuid_752079b4bada6617
	.section	.bss,"aw",@nobits
	.globl	__hip_cuid_752079b4bada6617
__hip_cuid_752079b4bada6617:
	.byte	0                               ; 0x0
	.size	__hip_cuid_752079b4bada6617, 1

	.ident	"AMD clang version 19.0.0git (https://github.com/RadeonOpenCompute/llvm-project roc-6.4.0 25133 c7fe45cf4b819c5991fe208aaa96edf142730f1d)"
	.section	".note.GNU-stack","",@progbits
	.addrsig
	.addrsig_sym __hip_cuid_752079b4bada6617
	.amdgpu_metadata
---
amdhsa.kernels:
  - .args:
      - .actual_access:  read_only
        .address_space:  global
        .offset:         0
        .size:           8
        .value_kind:     global_buffer
      - .offset:         8
        .size:           8
        .value_kind:     by_value
      - .actual_access:  read_only
        .address_space:  global
        .offset:         16
        .size:           8
        .value_kind:     global_buffer
      - .actual_access:  read_only
        .address_space:  global
        .offset:         24
        .size:           8
        .value_kind:     global_buffer
      - .actual_access:  read_only
        .address_space:  global
        .offset:         32
        .size:           8
        .value_kind:     global_buffer
      - .offset:         40
        .size:           8
        .value_kind:     by_value
      - .actual_access:  read_only
        .address_space:  global
        .offset:         48
        .size:           8
        .value_kind:     global_buffer
      - .actual_access:  read_only
        .address_space:  global
        .offset:         56
        .size:           8
        .value_kind:     global_buffer
      - .offset:         64
        .size:           4
        .value_kind:     by_value
      - .actual_access:  read_only
        .address_space:  global
        .offset:         72
        .size:           8
        .value_kind:     global_buffer
      - .actual_access:  read_only
        .address_space:  global
        .offset:         80
        .size:           8
        .value_kind:     global_buffer
      - .actual_access:  read_only
        .address_space:  global
        .offset:         88
        .size:           8
        .value_kind:     global_buffer
      - .actual_access:  write_only
        .address_space:  global
        .offset:         96
        .size:           8
        .value_kind:     global_buffer
    .group_segment_fixed_size: 0
    .kernarg_segment_align: 8
    .kernarg_segment_size: 104
    .language:       OpenCL C
    .language_version:
      - 2
      - 0
    .max_flat_workgroup_size: 85
    .name:           fft_rtc_back_len850_factors_10_5_17_wgs_85_tpt_85_half_op_CI_CI_unitstride_sbrr_C2R_dirReg
    .private_segment_fixed_size: 0
    .sgpr_count:     41
    .sgpr_spill_count: 0
    .symbol:         fft_rtc_back_len850_factors_10_5_17_wgs_85_tpt_85_half_op_CI_CI_unitstride_sbrr_C2R_dirReg.kd
    .uniform_work_group_size: 1
    .uses_dynamic_stack: false
    .vgpr_count:     214
    .vgpr_spill_count: 0
    .wavefront_size: 32
    .workgroup_processor_mode: 1
amdhsa.target:   amdgcn-amd-amdhsa--gfx1201
amdhsa.version:
  - 1
  - 2
...

	.end_amdgpu_metadata
